;; amdgpu-corpus repo=ROCm/rocFFT kind=compiled arch=gfx950 opt=O3
	.text
	.amdgcn_target "amdgcn-amd-amdhsa--gfx950"
	.amdhsa_code_object_version 6
	.protected	fft_rtc_back_len1904_factors_17_2_2_7_4_wgs_119_tpt_119_halfLds_dp_ip_CI_unitstride_sbrr_R2C_dirReg ; -- Begin function fft_rtc_back_len1904_factors_17_2_2_7_4_wgs_119_tpt_119_halfLds_dp_ip_CI_unitstride_sbrr_R2C_dirReg
	.globl	fft_rtc_back_len1904_factors_17_2_2_7_4_wgs_119_tpt_119_halfLds_dp_ip_CI_unitstride_sbrr_R2C_dirReg
	.p2align	8
	.type	fft_rtc_back_len1904_factors_17_2_2_7_4_wgs_119_tpt_119_halfLds_dp_ip_CI_unitstride_sbrr_R2C_dirReg,@function
fft_rtc_back_len1904_factors_17_2_2_7_4_wgs_119_tpt_119_halfLds_dp_ip_CI_unitstride_sbrr_R2C_dirReg: ; @fft_rtc_back_len1904_factors_17_2_2_7_4_wgs_119_tpt_119_halfLds_dp_ip_CI_unitstride_sbrr_R2C_dirReg
; %bb.0:
	s_load_dwordx2 s[8:9], s[0:1], 0x50
	s_load_dwordx4 s[4:7], s[0:1], 0x0
	s_load_dwordx2 s[10:11], s[0:1], 0x18
	v_mul_u32_u24_e32 v1, 0x227, v0
	v_add_u32_sdwa v6, s2, v1 dst_sel:DWORD dst_unused:UNUSED_PAD src0_sel:DWORD src1_sel:WORD_1
	v_mov_b32_e32 v4, 0
	s_waitcnt lgkmcnt(0)
	v_cmp_lt_u64_e64 s[2:3], s[6:7], 2
	v_mov_b32_e32 v7, v4
	s_and_b64 vcc, exec, s[2:3]
	v_mov_b64_e32 v[2:3], 0
	s_cbranch_vccnz .LBB0_8
; %bb.1:
	s_load_dwordx2 s[2:3], s[0:1], 0x10
	s_add_u32 s12, s10, 8
	s_addc_u32 s13, s11, 0
	s_mov_b64 s[14:15], 1
	v_mov_b64_e32 v[2:3], 0
	s_waitcnt lgkmcnt(0)
	s_add_u32 s16, s2, 8
	s_addc_u32 s17, s3, 0
.LBB0_2:                                ; =>This Inner Loop Header: Depth=1
	s_load_dwordx2 s[18:19], s[16:17], 0x0
                                        ; implicit-def: $vgpr8_vgpr9
	s_waitcnt lgkmcnt(0)
	v_or_b32_e32 v5, s19, v7
	v_cmp_ne_u64_e32 vcc, 0, v[4:5]
	s_and_saveexec_b64 s[2:3], vcc
	s_xor_b64 s[20:21], exec, s[2:3]
	s_cbranch_execz .LBB0_4
; %bb.3:                                ;   in Loop: Header=BB0_2 Depth=1
	v_cvt_f32_u32_e32 v1, s18
	v_cvt_f32_u32_e32 v5, s19
	s_sub_u32 s2, 0, s18
	s_subb_u32 s3, 0, s19
	v_fmac_f32_e32 v1, 0x4f800000, v5
	v_rcp_f32_e32 v1, v1
	s_nop 0
	v_mul_f32_e32 v1, 0x5f7ffffc, v1
	v_mul_f32_e32 v5, 0x2f800000, v1
	v_trunc_f32_e32 v5, v5
	v_fmac_f32_e32 v1, 0xcf800000, v5
	v_cvt_u32_f32_e32 v5, v5
	v_cvt_u32_f32_e32 v1, v1
	v_mul_lo_u32 v8, s2, v5
	v_mul_hi_u32 v10, s2, v1
	v_mul_lo_u32 v9, s3, v1
	v_add_u32_e32 v10, v10, v8
	v_mul_lo_u32 v12, s2, v1
	v_add_u32_e32 v13, v10, v9
	v_mul_hi_u32 v8, v1, v12
	v_mul_hi_u32 v11, v1, v13
	v_mul_lo_u32 v10, v1, v13
	v_mov_b32_e32 v9, v4
	v_lshl_add_u64 v[8:9], v[8:9], 0, v[10:11]
	v_mul_hi_u32 v11, v5, v12
	v_mul_lo_u32 v12, v5, v12
	v_add_co_u32_e32 v8, vcc, v8, v12
	v_mul_hi_u32 v10, v5, v13
	s_nop 0
	v_addc_co_u32_e32 v8, vcc, v9, v11, vcc
	v_mov_b32_e32 v9, v4
	s_nop 0
	v_addc_co_u32_e32 v11, vcc, 0, v10, vcc
	v_mul_lo_u32 v10, v5, v13
	v_lshl_add_u64 v[8:9], v[8:9], 0, v[10:11]
	v_add_co_u32_e32 v1, vcc, v1, v8
	v_mul_lo_u32 v10, s2, v1
	s_nop 0
	v_addc_co_u32_e32 v5, vcc, v5, v9, vcc
	v_mul_lo_u32 v8, s2, v5
	v_mul_hi_u32 v9, s2, v1
	v_add_u32_e32 v8, v9, v8
	v_mul_lo_u32 v9, s3, v1
	v_add_u32_e32 v12, v8, v9
	v_mul_hi_u32 v14, v5, v10
	v_mul_lo_u32 v15, v5, v10
	v_mul_hi_u32 v9, v1, v12
	v_mul_lo_u32 v8, v1, v12
	v_mul_hi_u32 v10, v1, v10
	v_mov_b32_e32 v11, v4
	v_lshl_add_u64 v[8:9], v[10:11], 0, v[8:9]
	v_add_co_u32_e32 v8, vcc, v8, v15
	v_mul_hi_u32 v13, v5, v12
	s_nop 0
	v_addc_co_u32_e32 v8, vcc, v9, v14, vcc
	v_mul_lo_u32 v10, v5, v12
	s_nop 0
	v_addc_co_u32_e32 v11, vcc, 0, v13, vcc
	v_mov_b32_e32 v9, v4
	v_lshl_add_u64 v[8:9], v[8:9], 0, v[10:11]
	v_add_co_u32_e32 v1, vcc, v1, v8
	v_mul_hi_u32 v10, v6, v1
	s_nop 0
	v_addc_co_u32_e32 v5, vcc, v5, v9, vcc
	v_mad_u64_u32 v[8:9], s[2:3], v6, v5, 0
	v_mov_b32_e32 v11, v4
	v_lshl_add_u64 v[8:9], v[10:11], 0, v[8:9]
	v_mad_u64_u32 v[12:13], s[2:3], v7, v1, 0
	v_add_co_u32_e32 v1, vcc, v8, v12
	v_mad_u64_u32 v[10:11], s[2:3], v7, v5, 0
	s_nop 0
	v_addc_co_u32_e32 v8, vcc, v9, v13, vcc
	v_mov_b32_e32 v9, v4
	s_nop 0
	v_addc_co_u32_e32 v11, vcc, 0, v11, vcc
	v_lshl_add_u64 v[8:9], v[8:9], 0, v[10:11]
	v_mul_lo_u32 v1, s19, v8
	v_mul_lo_u32 v5, s18, v9
	v_mad_u64_u32 v[10:11], s[2:3], s18, v8, 0
	v_add3_u32 v1, v11, v5, v1
	v_sub_u32_e32 v5, v7, v1
	v_mov_b32_e32 v11, s19
	v_sub_co_u32_e32 v14, vcc, v6, v10
	v_lshl_add_u64 v[12:13], v[8:9], 0, 1
	s_nop 0
	v_subb_co_u32_e64 v5, s[2:3], v5, v11, vcc
	v_subrev_co_u32_e64 v10, s[2:3], s18, v14
	v_subb_co_u32_e32 v1, vcc, v7, v1, vcc
	s_nop 0
	v_subbrev_co_u32_e64 v5, s[2:3], 0, v5, s[2:3]
	v_cmp_le_u32_e64 s[2:3], s19, v5
	v_cmp_le_u32_e32 vcc, s19, v1
	s_nop 0
	v_cndmask_b32_e64 v11, 0, -1, s[2:3]
	v_cmp_le_u32_e64 s[2:3], s18, v10
	s_nop 1
	v_cndmask_b32_e64 v10, 0, -1, s[2:3]
	v_cmp_eq_u32_e64 s[2:3], s19, v5
	s_nop 1
	v_cndmask_b32_e64 v5, v11, v10, s[2:3]
	v_lshl_add_u64 v[10:11], v[8:9], 0, 2
	v_cmp_ne_u32_e64 s[2:3], 0, v5
	s_nop 1
	v_cndmask_b32_e64 v5, v13, v11, s[2:3]
	v_cndmask_b32_e64 v11, 0, -1, vcc
	v_cmp_le_u32_e32 vcc, s18, v14
	s_nop 1
	v_cndmask_b32_e64 v13, 0, -1, vcc
	v_cmp_eq_u32_e32 vcc, s19, v1
	s_nop 1
	v_cndmask_b32_e32 v1, v11, v13, vcc
	v_cmp_ne_u32_e32 vcc, 0, v1
	v_cndmask_b32_e64 v1, v12, v10, s[2:3]
	s_nop 0
	v_cndmask_b32_e32 v9, v9, v5, vcc
	v_cndmask_b32_e32 v8, v8, v1, vcc
.LBB0_4:                                ;   in Loop: Header=BB0_2 Depth=1
	s_andn2_saveexec_b64 s[2:3], s[20:21]
	s_cbranch_execz .LBB0_6
; %bb.5:                                ;   in Loop: Header=BB0_2 Depth=1
	v_cvt_f32_u32_e32 v1, s18
	s_sub_i32 s20, 0, s18
	v_rcp_iflag_f32_e32 v1, v1
	s_nop 0
	v_mul_f32_e32 v1, 0x4f7ffffe, v1
	v_cvt_u32_f32_e32 v1, v1
	v_mul_lo_u32 v5, s20, v1
	v_mul_hi_u32 v5, v1, v5
	v_add_u32_e32 v1, v1, v5
	v_mul_hi_u32 v1, v6, v1
	v_mul_lo_u32 v5, v1, s18
	v_sub_u32_e32 v5, v6, v5
	v_add_u32_e32 v8, 1, v1
	v_subrev_u32_e32 v9, s18, v5
	v_cmp_le_u32_e32 vcc, s18, v5
	s_nop 1
	v_cndmask_b32_e32 v5, v5, v9, vcc
	v_cndmask_b32_e32 v1, v1, v8, vcc
	v_add_u32_e32 v8, 1, v1
	v_cmp_le_u32_e32 vcc, s18, v5
	v_mov_b32_e32 v9, v4
	s_nop 0
	v_cndmask_b32_e32 v8, v1, v8, vcc
.LBB0_6:                                ;   in Loop: Header=BB0_2 Depth=1
	s_or_b64 exec, exec, s[2:3]
	v_mad_u64_u32 v[10:11], s[2:3], v8, s18, 0
	s_load_dwordx2 s[2:3], s[12:13], 0x0
	v_mul_lo_u32 v1, v9, s18
	v_mul_lo_u32 v5, v8, s19
	v_add3_u32 v1, v11, v5, v1
	v_sub_co_u32_e32 v5, vcc, v6, v10
	s_add_u32 s14, s14, 1
	s_nop 0
	v_subb_co_u32_e32 v1, vcc, v7, v1, vcc
	s_addc_u32 s15, s15, 0
	s_waitcnt lgkmcnt(0)
	v_mul_lo_u32 v1, s2, v1
	v_mul_lo_u32 v6, s3, v5
	v_mad_u64_u32 v[2:3], s[2:3], s2, v5, v[2:3]
	s_add_u32 s12, s12, 8
	v_add3_u32 v3, v6, v3, v1
	s_addc_u32 s13, s13, 0
	v_mov_b64_e32 v[6:7], s[6:7]
	s_add_u32 s16, s16, 8
	v_cmp_ge_u64_e32 vcc, s[14:15], v[6:7]
	s_addc_u32 s17, s17, 0
	s_cbranch_vccnz .LBB0_9
; %bb.7:                                ;   in Loop: Header=BB0_2 Depth=1
	v_mov_b64_e32 v[6:7], v[8:9]
	s_branch .LBB0_2
.LBB0_8:
	v_mov_b64_e32 v[8:9], v[6:7]
.LBB0_9:
	s_lshl_b64 s[2:3], s[6:7], 3
	s_add_u32 s2, s10, s2
	s_addc_u32 s3, s11, s3
	s_load_dwordx2 s[6:7], s[2:3], 0x0
	s_load_dwordx2 s[10:11], s[0:1], 0x20
	s_mov_b32 s2, 0x226b903
	s_waitcnt lgkmcnt(0)
	v_mul_lo_u32 v1, s6, v9
	v_mul_lo_u32 v4, s7, v8
	v_mad_u64_u32 v[2:3], s[0:1], s6, v8, v[2:3]
	v_add3_u32 v3, v4, v3, v1
	v_mul_hi_u32 v1, v0, s2
	v_mul_u32_u24_e32 v1, 0x77, v1
	v_sub_u32_e32 v118, v0, v1
	v_cmp_gt_u64_e64 s[0:1], s[10:11], v[8:9]
	v_lshl_add_u64 v[116:117], v[2:3], 4, s[8:9]
	v_lshl_add_u32 v216, v118, 4, 0
	s_and_saveexec_b64 s[2:3], s[0:1]
	s_cbranch_execz .LBB0_11
; %bb.10:
	v_mov_b32_e32 v119, 0
	v_lshl_add_u64 v[48:49], v[118:119], 4, v[116:117]
	v_add_co_u32_e32 v24, vcc, 0x1000, v48
	global_load_dwordx4 v[0:3], v[48:49], off
	global_load_dwordx4 v[4:7], v[48:49], off offset:1904
	v_addc_co_u32_e32 v25, vcc, 0, v49, vcc
	v_add_co_u32_e32 v32, vcc, 0x2000, v48
	global_load_dwordx4 v[8:11], v[48:49], off offset:3808
	global_load_dwordx4 v[12:15], v[24:25], off offset:1616
	v_addc_co_u32_e32 v33, vcc, 0, v49, vcc
	v_add_co_u32_e32 v40, vcc, 0x3000, v48
	global_load_dwordx4 v[16:19], v[24:25], off offset:3520
	;; [unrolled: 4-line block ×5, first 2 shown]
	global_load_dwordx4 v[44:47], v[64:65], off offset:464
	v_addc_co_u32_e32 v67, vcc, 0, v49, vcc
	global_load_dwordx4 v[48:51], v[64:65], off offset:2368
	global_load_dwordx4 v[52:55], v[66:67], off offset:176
	;; [unrolled: 1-line block ×4, first 2 shown]
	s_waitcnt vmcnt(15)
	ds_write_b128 v216, v[0:3]
	s_waitcnt vmcnt(14)
	ds_write_b128 v216, v[4:7] offset:1904
	s_waitcnt vmcnt(13)
	ds_write_b128 v216, v[8:11] offset:3808
	;; [unrolled: 2-line block ×15, first 2 shown]
.LBB0_11:
	s_or_b64 exec, exec, s[2:3]
	s_waitcnt lgkmcnt(0)
	s_barrier
	ds_read_b128 v[4:7], v216 offset:28672
	ds_read_b128 v[8:11], v216 offset:1792
	ds_read_b128 v[12:15], v216
	ds_read_b128 v[16:19], v216 offset:3584
	ds_read_b128 v[20:23], v216 offset:5376
	;; [unrolled: 1-line block ×4, first 2 shown]
	s_mov_b32 s22, 0x5d8e7cdc
	s_waitcnt lgkmcnt(5)
	v_add_f64 v[138:139], v[10:11], -v[6:7]
	s_mov_b32 s2, 0x370991
	s_mov_b32 s23, 0xbfd71e95
	;; [unrolled: 1-line block ×3, first 2 shown]
	v_add_f64 v[124:125], v[8:9], v[4:5]
	v_add_f64 v[128:129], v[10:11], v[6:7]
	s_mov_b32 s3, 0x3fedd6d0
	v_mul_f64 v[120:121], v[138:139], s[22:23]
	s_waitcnt lgkmcnt(1)
	v_add_f64 v[150:151], v[18:19], -v[26:27]
	s_mov_b32 s6, 0x75d4884
	s_mov_b32 s15, 0xbfe58eea
	v_add_f64 v[146:147], v[8:9], -v[4:5]
	v_mul_f64 v[122:123], v[128:129], s[2:3]
	v_fma_f64 v[0:1], v[124:125], s[2:3], -v[120:121]
	v_add_f64 v[134:135], v[16:17], v[24:25]
	v_add_f64 v[142:143], v[18:19], v[26:27]
	s_mov_b32 s7, 0x3fe7a5f6
	v_mul_f64 v[126:127], v[150:151], s[14:15]
	s_mov_b32 s28, 0x7c9e640b
	v_add_f64 v[0:1], v[12:13], v[0:1]
	v_fma_f64 v[2:3], s[22:23], v[146:147], v[122:123]
	v_add_f64 v[162:163], v[16:17], -v[24:25]
	v_mul_f64 v[130:131], v[142:143], s[6:7]
	v_fma_f64 v[32:33], v[134:135], s[6:7], -v[126:127]
	s_mov_b32 s8, 0x2b2883cd
	s_mov_b32 s29, 0xbfeca52d
	s_waitcnt lgkmcnt(0)
	v_add_f64 v[158:159], v[22:23], -v[30:31]
	v_add_f64 v[2:3], v[14:15], v[2:3]
	v_add_f64 v[0:1], v[32:33], v[0:1]
	v_fma_f64 v[32:33], s[14:15], v[162:163], v[130:131]
	s_mov_b32 s9, 0x3fdc86fa
	v_add_f64 v[140:141], v[20:21], v[28:29]
	v_mul_f64 v[132:133], v[158:159], s[28:29]
	v_add_f64 v[148:149], v[22:23], v[30:31]
	v_add_f64 v[2:3], v[32:33], v[2:3]
	v_fma_f64 v[32:33], v[140:141], s[8:9], -v[132:133]
	v_add_f64 v[170:171], v[20:21], -v[28:29]
	v_mul_f64 v[136:137], v[148:149], s[8:9]
	v_add_f64 v[0:1], v[32:33], v[0:1]
	v_fma_f64 v[32:33], s[28:29], v[170:171], v[136:137]
	v_add_f64 v[2:3], v[32:33], v[2:3]
	ds_read_b128 v[32:35], v216 offset:23296
	ds_read_b128 v[36:39], v216 offset:7168
	;; [unrolled: 1-line block ×4, first 2 shown]
	s_mov_b32 s18, 0xeb564b22
	s_mov_b32 s12, 0x3259b75e
	;; [unrolled: 1-line block ×3, first 2 shown]
	s_waitcnt lgkmcnt(2)
	v_add_f64 v[178:179], v[38:39], -v[34:35]
	s_mov_b32 s13, 0x3fb79ee6
	v_add_f64 v[156:157], v[36:37], v[32:33]
	v_mul_f64 v[144:145], v[178:179], s[18:19]
	v_add_f64 v[166:167], v[38:39], v[34:35]
	s_mov_b32 s24, 0x923c349f
	v_fma_f64 v[48:49], v[156:157], s[12:13], -v[144:145]
	v_add_f64 v[192:193], v[36:37], -v[32:33]
	v_mul_f64 v[154:155], v[166:167], s[12:13]
	s_mov_b32 s16, 0xc61f0d01
	s_mov_b32 s25, 0xbfeec746
	s_waitcnt lgkmcnt(0)
	v_add_f64 v[184:185], v[42:43], -v[46:47]
	v_add_f64 v[0:1], v[48:49], v[0:1]
	v_fma_f64 v[48:49], s[18:19], v[192:193], v[154:155]
	s_mov_b32 s17, 0xbfd183b1
	v_add_f64 v[164:165], v[40:41], v[44:45]
	v_mul_f64 v[152:153], v[184:185], s[24:25]
	v_add_f64 v[172:173], v[42:43], v[46:47]
	v_add_f64 v[2:3], v[48:49], v[2:3]
	v_fma_f64 v[48:49], v[164:165], s[16:17], -v[152:153]
	v_add_f64 v[180:181], v[40:41], -v[44:45]
	v_mul_f64 v[160:161], v[172:173], s[16:17]
	v_add_f64 v[0:1], v[48:49], v[0:1]
	v_fma_f64 v[48:49], s[24:25], v[180:181], v[160:161]
	v_add_f64 v[2:3], v[48:49], v[2:3]
	ds_read_b128 v[48:51], v216 offset:19712
	ds_read_b128 v[52:55], v216 offset:10752
	ds_read_b128 v[56:59], v216 offset:12544
	ds_read_b128 v[60:63], v216 offset:17920
	s_mov_b32 s26, 0x6c9a05f6
	s_mov_b32 s20, 0x6ed5f1bb
	;; [unrolled: 1-line block ×3, first 2 shown]
	s_waitcnt lgkmcnt(2)
	v_add_f64 v[206:207], v[54:55], -v[50:51]
	s_mov_b32 s21, 0xbfe348c8
	v_add_f64 v[182:183], v[52:53], v[48:49]
	v_mul_f64 v[168:169], v[206:207], s[26:27]
	v_add_f64 v[194:195], v[54:55], v[50:51]
	s_mov_b32 s36, 0x4363dd80
	v_fma_f64 v[64:65], v[182:183], s[20:21], -v[168:169]
	v_add_f64 v[196:197], v[52:53], -v[48:49]
	v_mul_f64 v[176:177], v[194:195], s[20:21]
	s_mov_b32 s30, 0x910ea3b9
	s_mov_b32 s37, 0xbfe0d888
	s_waitcnt lgkmcnt(0)
	v_add_f64 v[208:209], v[58:59], -v[62:63]
	v_add_f64 v[0:1], v[64:65], v[0:1]
	v_fma_f64 v[64:65], s[26:27], v[196:197], v[176:177]
	s_mov_b32 s31, 0xbfeb34fa
	v_add_f64 v[190:191], v[56:57], v[60:61]
	v_mul_f64 v[174:175], v[208:209], s[36:37]
	v_add_f64 v[202:203], v[58:59], v[62:63]
	v_add_f64 v[2:3], v[64:65], v[2:3]
	v_fma_f64 v[64:65], v[190:191], s[30:31], -v[174:175]
	v_add_f64 v[204:205], v[56:57], -v[60:61]
	v_mul_f64 v[186:187], v[202:203], s[30:31]
	v_add_f64 v[0:1], v[64:65], v[0:1]
	v_fma_f64 v[64:65], s[36:37], v[204:205], v[186:187]
	v_add_f64 v[2:3], v[64:65], v[2:3]
	ds_read_b128 v[64:67], v216 offset:14336
	ds_read_b128 v[68:71], v216 offset:16128
	s_mov_b32 s38, 0xacd6c6b4
	s_mov_b32 s34, 0x7faef3
	;; [unrolled: 1-line block ×4, first 2 shown]
	s_waitcnt lgkmcnt(0)
	v_add_f64 v[214:215], v[66:67], -v[70:71]
	v_add_f64 v[200:201], v[64:65], v[68:69]
	v_mul_f64 v[188:189], v[214:215], s[38:39]
	v_add_f64 v[212:213], v[66:67], v[70:71]
	v_fma_f64 v[72:73], v[200:201], s[34:35], -v[188:189]
	v_add_f64 v[210:211], v[64:65], -v[68:69]
	v_mul_f64 v[198:199], v[212:213], s[34:35]
	v_add_f64 v[0:1], v[72:73], v[0:1]
	v_fma_f64 v[72:73], s[38:39], v[210:211], v[198:199]
	s_movk_i32 s10, 0x70
	v_add_f64 v[2:3], v[72:73], v[2:3]
	v_cmp_gt_u32_e32 vcc, s10, v118
	s_barrier
	s_and_saveexec_b64 s[10:11], vcc
	s_cbranch_execz .LBB0_13
; %bb.12:
	s_mov_b32 s43, 0x3fd71e95
	s_mov_b32 s42, s22
	v_mul_f64 v[100:101], v[146:147], s[38:39]
	v_mul_f64 v[96:97], v[162:163], s[42:43]
	v_fma_f64 v[102:103], s[34:35], v[128:129], v[100:101]
	v_mul_f64 v[220:221], v[138:139], s[38:39]
	s_mov_b32 s45, 0x3fe58eea
	s_mov_b32 s44, s14
	v_mul_f64 v[92:93], v[170:171], s[36:37]
	v_fma_f64 v[98:99], s[2:3], v[142:143], v[96:97]
	v_add_f64 v[102:103], v[14:15], v[102:103]
	v_mul_f64 v[114:115], v[150:151], s[42:43]
	v_fma_f64 v[222:223], v[124:125], s[34:35], -v[220:221]
	v_mul_f64 v[88:89], v[192:193], s[44:45]
	v_fma_f64 v[94:95], s[30:31], v[148:149], v[92:93]
	v_add_f64 v[98:99], v[98:99], v[102:103]
	v_mul_f64 v[110:111], v[158:159], s[36:37]
	v_fma_f64 v[218:219], v[134:135], s[2:3], -v[114:115]
	v_add_f64 v[222:223], v[12:13], v[222:223]
	s_mov_b32 s41, 0x3feca52d
	s_mov_b32 s40, s28
	v_mul_f64 v[84:85], v[180:181], s[26:27]
	v_fma_f64 v[90:91], s[6:7], v[166:167], v[88:89]
	v_add_f64 v[94:95], v[94:95], v[98:99]
	v_mul_f64 v[106:107], v[178:179], s[44:45]
	v_fma_f64 v[112:113], v[140:141], s[30:31], -v[110:111]
	v_add_f64 v[218:219], v[218:219], v[222:223]
	v_mul_f64 v[80:81], v[196:197], s[40:41]
	v_fma_f64 v[86:87], s[20:21], v[172:173], v[84:85]
	v_add_f64 v[90:91], v[90:91], v[94:95]
	v_mul_f64 v[102:103], v[184:185], s[26:27]
	v_fma_f64 v[108:109], v[156:157], s[6:7], -v[106:107]
	v_add_f64 v[112:113], v[112:113], v[218:219]
	s_mov_b32 s51, 0x3fefdd0d
	s_mov_b32 s50, s18
	v_mul_f64 v[78:79], v[204:205], s[24:25]
	v_fma_f64 v[82:83], s[8:9], v[194:195], v[80:81]
	v_add_f64 v[86:87], v[86:87], v[90:91]
	v_mul_f64 v[94:95], v[206:207], s[40:41]
	v_fma_f64 v[104:105], v[164:165], s[20:21], -v[102:103]
	v_add_f64 v[108:109], v[108:109], v[112:113]
	v_mul_f64 v[76:77], v[210:211], s[50:51]
	v_fma_f64 v[74:75], s[16:17], v[202:203], v[78:79]
	v_add_f64 v[82:83], v[82:83], v[86:87]
	v_mul_f64 v[86:87], v[208:209], s[24:25]
	v_fma_f64 v[98:99], v[182:183], s[8:9], -v[94:95]
	v_add_f64 v[104:105], v[104:105], v[108:109]
	v_fma_f64 v[72:73], s[12:13], v[212:213], v[76:77]
	v_add_f64 v[74:75], v[74:75], v[82:83]
	v_mul_f64 v[82:83], v[214:215], s[50:51]
	v_fma_f64 v[90:91], v[190:191], s[16:17], -v[86:87]
	v_add_f64 v[98:99], v[98:99], v[104:105]
	v_add_f64 v[74:75], v[72:73], v[74:75]
	v_fma_f64 v[72:73], v[200:201], s[12:13], -v[82:83]
	v_add_f64 v[90:91], v[90:91], v[98:99]
	v_add_f64 v[72:73], v[72:73], v[90:91]
	v_fma_f64 v[90:91], v[148:149], s[30:31], -v[92:93]
	v_fma_f64 v[92:93], v[142:143], s[2:3], -v[96:97]
	;; [unrolled: 1-line block ×3, first 2 shown]
	v_add_f64 v[96:97], v[14:15], v[96:97]
	v_add_f64 v[92:93], v[92:93], v[96:97]
	v_fma_f64 v[88:89], v[166:167], s[6:7], -v[88:89]
	v_add_f64 v[90:91], v[90:91], v[92:93]
	v_fma_f64 v[84:85], v[172:173], s[20:21], -v[84:85]
	;; [unrolled: 2-line block ×5, first 2 shown]
	v_add_f64 v[78:79], v[78:79], v[80:81]
	v_fmac_f64_e32 v[220:221], s[34:35], v[124:125]
	v_add_f64 v[78:79], v[76:77], v[78:79]
	v_fmac_f64_e32 v[114:115], s[2:3], v[134:135]
	v_add_f64 v[76:77], v[12:13], v[220:221]
	v_fmac_f64_e32 v[110:111], s[30:31], v[140:141]
	v_add_f64 v[76:77], v[114:115], v[76:77]
	v_mul_f64 v[108:109], v[146:147], s[36:37]
	v_fmac_f64_e32 v[106:107], s[6:7], v[156:157]
	v_add_f64 v[76:77], v[110:111], v[76:77]
	v_mul_f64 v[104:105], v[162:163], s[40:41]
	v_fma_f64 v[110:111], s[30:31], v[128:129], v[108:109]
	v_mul_f64 v[228:229], v[138:139], s[36:37]
	v_fmac_f64_e32 v[102:103], s[20:21], v[164:165]
	v_add_f64 v[76:77], v[106:107], v[76:77]
	s_mov_b32 s53, 0x3fe9895b
	s_mov_b32 s52, s26
	v_mul_f64 v[100:101], v[170:171], s[18:19]
	v_fma_f64 v[106:107], s[8:9], v[142:143], v[104:105]
	v_add_f64 v[110:111], v[14:15], v[110:111]
	v_mul_f64 v[224:225], v[150:151], s[40:41]
	v_fma_f64 v[230:231], v[124:125], s[30:31], -v[228:229]
	v_add_f64 v[76:77], v[102:103], v[76:77]
	v_mul_f64 v[96:97], v[192:193], s[52:53]
	v_fma_f64 v[102:103], s[12:13], v[148:149], v[100:101]
	v_add_f64 v[106:107], v[106:107], v[110:111]
	v_mul_f64 v[220:221], v[158:159], s[18:19]
	v_fma_f64 v[226:227], v[134:135], s[8:9], -v[224:225]
	v_add_f64 v[230:231], v[12:13], v[230:231]
	v_fmac_f64_e32 v[94:95], s[8:9], v[182:183]
	v_mul_f64 v[92:93], v[180:181], s[22:23]
	v_fma_f64 v[98:99], s[20:21], v[166:167], v[96:97]
	v_add_f64 v[102:103], v[102:103], v[106:107]
	v_mul_f64 v[114:115], v[178:179], s[52:53]
	v_fma_f64 v[222:223], v[140:141], s[12:13], -v[220:221]
	v_add_f64 v[226:227], v[226:227], v[230:231]
	v_fmac_f64_e32 v[86:87], s[16:17], v[190:191]
	v_add_f64 v[76:77], v[94:95], v[76:77]
	v_mul_f64 v[88:89], v[196:197], s[38:39]
	v_fma_f64 v[94:95], s[2:3], v[172:173], v[92:93]
	v_add_f64 v[98:99], v[98:99], v[102:103]
	v_mul_f64 v[110:111], v[184:185], s[22:23]
	v_fma_f64 v[218:219], v[156:157], s[20:21], -v[114:115]
	v_add_f64 v[222:223], v[222:223], v[226:227]
	v_fmac_f64_e32 v[82:83], s[12:13], v[200:201]
	v_add_f64 v[76:77], v[86:87], v[76:77]
	v_mul_f64 v[86:87], v[204:205], s[44:45]
	v_fma_f64 v[90:91], s[34:35], v[194:195], v[88:89]
	v_add_f64 v[94:95], v[94:95], v[98:99]
	v_mul_f64 v[102:103], v[206:207], s[38:39]
	v_fma_f64 v[112:113], v[164:165], s[2:3], -v[110:111]
	v_add_f64 v[218:219], v[218:219], v[222:223]
	v_add_f64 v[76:77], v[82:83], v[76:77]
	v_mul_f64 v[84:85], v[210:211], s[24:25]
	v_fma_f64 v[82:83], s[6:7], v[202:203], v[86:87]
	v_add_f64 v[90:91], v[90:91], v[94:95]
	v_mul_f64 v[94:95], v[208:209], s[44:45]
	v_fma_f64 v[106:107], v[182:183], s[34:35], -v[102:103]
	v_add_f64 v[112:113], v[112:113], v[218:219]
	v_fma_f64 v[80:81], s[16:17], v[212:213], v[84:85]
	v_add_f64 v[82:83], v[82:83], v[90:91]
	v_mul_f64 v[90:91], v[214:215], s[24:25]
	v_fma_f64 v[98:99], v[190:191], s[6:7], -v[94:95]
	v_add_f64 v[106:107], v[106:107], v[112:113]
	v_add_f64 v[82:83], v[80:81], v[82:83]
	v_fma_f64 v[80:81], v[200:201], s[16:17], -v[90:91]
	v_add_f64 v[98:99], v[98:99], v[106:107]
	v_add_f64 v[80:81], v[80:81], v[98:99]
	v_fma_f64 v[98:99], v[148:149], s[12:13], -v[100:101]
	v_fma_f64 v[100:101], v[142:143], s[8:9], -v[104:105]
	;; [unrolled: 1-line block ×3, first 2 shown]
	v_add_f64 v[104:105], v[14:15], v[104:105]
	v_add_f64 v[100:101], v[100:101], v[104:105]
	v_fma_f64 v[96:97], v[166:167], s[20:21], -v[96:97]
	v_add_f64 v[98:99], v[98:99], v[100:101]
	v_fma_f64 v[92:93], v[172:173], s[2:3], -v[92:93]
	;; [unrolled: 2-line block ×5, first 2 shown]
	v_add_f64 v[86:87], v[86:87], v[88:89]
	v_fmac_f64_e32 v[228:229], s[30:31], v[124:125]
	v_add_f64 v[86:87], v[84:85], v[86:87]
	v_fmac_f64_e32 v[224:225], s[8:9], v[134:135]
	;; [unrolled: 2-line block ×3, first 2 shown]
	v_add_f64 v[84:85], v[224:225], v[84:85]
	s_mov_b32 s47, 0x3feec746
	s_mov_b32 s46, s24
	v_mul_f64 v[218:219], v[146:147], s[26:27]
	v_fmac_f64_e32 v[114:115], s[20:21], v[156:157]
	v_add_f64 v[84:85], v[220:221], v[84:85]
	v_mul_f64 v[112:113], v[162:163], s[46:47]
	v_fma_f64 v[220:221], s[20:21], v[128:129], v[218:219]
	v_mul_f64 v[236:237], v[138:139], s[26:27]
	v_fmac_f64_e32 v[110:111], s[2:3], v[164:165]
	v_add_f64 v[84:85], v[114:115], v[84:85]
	v_mul_f64 v[108:109], v[170:171], s[22:23]
	v_fma_f64 v[114:115], s[16:17], v[142:143], v[112:113]
	v_add_f64 v[220:221], v[14:15], v[220:221]
	v_mul_f64 v[232:233], v[150:151], s[46:47]
	v_fma_f64 v[238:239], v[124:125], s[20:21], -v[236:237]
	v_add_f64 v[84:85], v[110:111], v[84:85]
	v_mul_f64 v[104:105], v[192:193], s[36:37]
	v_fma_f64 v[110:111], s[2:3], v[148:149], v[108:109]
	v_add_f64 v[114:115], v[114:115], v[220:221]
	v_mul_f64 v[228:229], v[158:159], s[22:23]
	v_fma_f64 v[234:235], v[134:135], s[16:17], -v[232:233]
	v_add_f64 v[238:239], v[12:13], v[238:239]
	v_fmac_f64_e32 v[102:103], s[34:35], v[182:183]
	v_mul_f64 v[100:101], v[180:181], s[50:51]
	v_fma_f64 v[106:107], s[30:31], v[166:167], v[104:105]
	v_add_f64 v[110:111], v[110:111], v[114:115]
	v_mul_f64 v[224:225], v[178:179], s[36:37]
	v_fma_f64 v[230:231], v[140:141], s[2:3], -v[228:229]
	v_add_f64 v[234:235], v[234:235], v[238:239]
	v_fmac_f64_e32 v[94:95], s[6:7], v[190:191]
	v_add_f64 v[84:85], v[102:103], v[84:85]
	v_mul_f64 v[96:97], v[196:197], s[14:15]
	v_fma_f64 v[102:103], s[12:13], v[172:173], v[100:101]
	v_add_f64 v[106:107], v[106:107], v[110:111]
	v_mul_f64 v[220:221], v[184:185], s[50:51]
	v_fma_f64 v[226:227], v[156:157], s[30:31], -v[224:225]
	v_add_f64 v[230:231], v[230:231], v[234:235]
	v_fmac_f64_e32 v[90:91], s[16:17], v[200:201]
	v_add_f64 v[84:85], v[94:95], v[84:85]
	v_mul_f64 v[94:95], v[204:205], s[38:39]
	v_fma_f64 v[98:99], s[6:7], v[194:195], v[96:97]
	v_add_f64 v[102:103], v[102:103], v[106:107]
	v_mul_f64 v[110:111], v[206:207], s[14:15]
	v_fma_f64 v[222:223], v[164:165], s[12:13], -v[220:221]
	v_add_f64 v[226:227], v[226:227], v[230:231]
	v_add_f64 v[84:85], v[90:91], v[84:85]
	v_mul_f64 v[92:93], v[210:211], s[40:41]
	v_fma_f64 v[90:91], s[34:35], v[202:203], v[94:95]
	v_add_f64 v[98:99], v[98:99], v[102:103]
	v_mul_f64 v[102:103], v[208:209], s[38:39]
	v_fma_f64 v[114:115], v[182:183], s[6:7], -v[110:111]
	v_add_f64 v[222:223], v[222:223], v[226:227]
	v_fma_f64 v[88:89], s[8:9], v[212:213], v[92:93]
	v_add_f64 v[90:91], v[90:91], v[98:99]
	v_mul_f64 v[98:99], v[214:215], s[40:41]
	v_fma_f64 v[106:107], v[190:191], s[34:35], -v[102:103]
	v_add_f64 v[114:115], v[114:115], v[222:223]
	v_add_f64 v[90:91], v[88:89], v[90:91]
	v_fma_f64 v[88:89], v[200:201], s[8:9], -v[98:99]
	v_add_f64 v[106:107], v[106:107], v[114:115]
	v_add_f64 v[88:89], v[88:89], v[106:107]
	v_fma_f64 v[106:107], v[148:149], s[2:3], -v[108:109]
	v_fma_f64 v[108:109], v[142:143], s[16:17], -v[112:113]
	;; [unrolled: 1-line block ×3, first 2 shown]
	v_add_f64 v[112:113], v[14:15], v[112:113]
	v_add_f64 v[108:109], v[108:109], v[112:113]
	v_fma_f64 v[104:105], v[166:167], s[30:31], -v[104:105]
	v_add_f64 v[106:107], v[106:107], v[108:109]
	v_fma_f64 v[100:101], v[172:173], s[12:13], -v[100:101]
	;; [unrolled: 2-line block ×5, first 2 shown]
	v_add_f64 v[94:95], v[94:95], v[96:97]
	v_fmac_f64_e32 v[236:237], s[20:21], v[124:125]
	v_add_f64 v[94:95], v[92:93], v[94:95]
	v_fmac_f64_e32 v[232:233], s[16:17], v[134:135]
	;; [unrolled: 2-line block ×3, first 2 shown]
	v_add_f64 v[92:93], v[232:233], v[92:93]
	s_mov_b32 s49, 0x3fe0d888
	s_mov_b32 s48, s36
	v_mul_f64 v[226:227], v[146:147], s[24:25]
	v_fmac_f64_e32 v[224:225], s[30:31], v[156:157]
	v_add_f64 v[92:93], v[228:229], v[92:93]
	v_mul_f64 v[222:223], v[162:163], s[48:49]
	v_fma_f64 v[228:229], s[16:17], v[128:129], v[226:227]
	v_mul_f64 v[244:245], v[138:139], s[24:25]
	v_fmac_f64_e32 v[220:221], s[12:13], v[164:165]
	v_add_f64 v[92:93], v[224:225], v[92:93]
	v_mul_f64 v[218:219], v[170:171], s[44:45]
	v_fma_f64 v[224:225], s[30:31], v[142:143], v[222:223]
	v_add_f64 v[228:229], v[14:15], v[228:229]
	v_mul_f64 v[240:241], v[150:151], s[48:49]
	v_fma_f64 v[246:247], v[124:125], s[16:17], -v[244:245]
	v_add_f64 v[92:93], v[220:221], v[92:93]
	v_mul_f64 v[112:113], v[192:193], s[28:29]
	v_fma_f64 v[220:221], s[6:7], v[148:149], v[218:219]
	v_add_f64 v[224:225], v[224:225], v[228:229]
	v_mul_f64 v[236:237], v[158:159], s[44:45]
	v_fma_f64 v[242:243], v[134:135], s[30:31], -v[240:241]
	v_add_f64 v[246:247], v[12:13], v[246:247]
	v_fmac_f64_e32 v[110:111], s[6:7], v[182:183]
	v_mul_f64 v[108:109], v[180:181], s[38:39]
	v_fma_f64 v[114:115], s[8:9], v[166:167], v[112:113]
	v_add_f64 v[220:221], v[220:221], v[224:225]
	v_mul_f64 v[232:233], v[178:179], s[28:29]
	v_fma_f64 v[238:239], v[140:141], s[6:7], -v[236:237]
	v_add_f64 v[242:243], v[242:243], v[246:247]
	v_fmac_f64_e32 v[102:103], s[34:35], v[190:191]
	v_add_f64 v[92:93], v[110:111], v[92:93]
	v_mul_f64 v[104:105], v[196:197], s[50:51]
	v_fma_f64 v[110:111], s[34:35], v[172:173], v[108:109]
	v_add_f64 v[114:115], v[114:115], v[220:221]
	v_mul_f64 v[228:229], v[184:185], s[38:39]
	v_fma_f64 v[234:235], v[156:157], s[8:9], -v[232:233]
	v_add_f64 v[238:239], v[238:239], v[242:243]
	v_fmac_f64_e32 v[98:99], s[8:9], v[200:201]
	v_add_f64 v[92:93], v[102:103], v[92:93]
	v_mul_f64 v[102:103], v[204:205], s[22:23]
	v_fma_f64 v[106:107], s[12:13], v[194:195], v[104:105]
	v_add_f64 v[110:111], v[110:111], v[114:115]
	v_mul_f64 v[220:221], v[206:207], s[50:51]
	v_fma_f64 v[230:231], v[164:165], s[34:35], -v[228:229]
	v_add_f64 v[234:235], v[234:235], v[238:239]
	v_add_f64 v[92:93], v[98:99], v[92:93]
	v_mul_f64 v[100:101], v[210:211], s[26:27]
	v_fma_f64 v[98:99], s[2:3], v[202:203], v[102:103]
	v_add_f64 v[106:107], v[106:107], v[110:111]
	v_mul_f64 v[110:111], v[208:209], s[22:23]
	v_fma_f64 v[224:225], v[182:183], s[12:13], -v[220:221]
	v_add_f64 v[230:231], v[230:231], v[234:235]
	v_fma_f64 v[96:97], s[20:21], v[212:213], v[100:101]
	v_add_f64 v[98:99], v[98:99], v[106:107]
	v_mul_f64 v[106:107], v[214:215], s[26:27]
	v_fma_f64 v[114:115], v[190:191], s[2:3], -v[110:111]
	v_add_f64 v[224:225], v[224:225], v[230:231]
	v_add_f64 v[98:99], v[96:97], v[98:99]
	v_fma_f64 v[96:97], v[200:201], s[20:21], -v[106:107]
	v_add_f64 v[114:115], v[114:115], v[224:225]
	v_add_f64 v[96:97], v[96:97], v[114:115]
	v_fma_f64 v[114:115], v[148:149], s[6:7], -v[218:219]
	v_fma_f64 v[218:219], v[142:143], s[30:31], -v[222:223]
	;; [unrolled: 1-line block ×3, first 2 shown]
	v_add_f64 v[222:223], v[14:15], v[222:223]
	v_add_f64 v[218:219], v[218:219], v[222:223]
	v_fma_f64 v[112:113], v[166:167], s[8:9], -v[112:113]
	v_add_f64 v[114:115], v[114:115], v[218:219]
	v_fma_f64 v[108:109], v[172:173], s[34:35], -v[108:109]
	;; [unrolled: 2-line block ×5, first 2 shown]
	v_add_f64 v[102:103], v[102:103], v[104:105]
	v_fmac_f64_e32 v[244:245], s[16:17], v[124:125]
	v_add_f64 v[102:103], v[100:101], v[102:103]
	v_fmac_f64_e32 v[240:241], s[30:31], v[134:135]
	;; [unrolled: 2-line block ×3, first 2 shown]
	v_add_f64 v[100:101], v[240:241], v[100:101]
	v_mul_f64 v[234:235], v[146:147], s[18:19]
	v_fmac_f64_e32 v[232:233], s[8:9], v[156:157]
	v_add_f64 v[100:101], v[236:237], v[100:101]
	v_mul_f64 v[230:231], v[162:163], s[38:39]
	v_fma_f64 v[236:237], s[12:13], v[128:129], v[234:235]
	v_mul_f64 v[248:249], v[138:139], s[18:19]
	v_fmac_f64_e32 v[228:229], s[34:35], v[164:165]
	v_add_f64 v[100:101], v[232:233], v[100:101]
	v_mul_f64 v[226:227], v[170:171], s[46:47]
	v_fma_f64 v[232:233], s[34:35], v[142:143], v[230:231]
	v_add_f64 v[236:237], v[14:15], v[236:237]
	v_mul_f64 v[244:245], v[150:151], s[38:39]
	v_fma_f64 v[250:251], v[124:125], s[12:13], -v[248:249]
	v_add_f64 v[100:101], v[228:229], v[100:101]
	v_mul_f64 v[222:223], v[192:193], s[42:43]
	v_fma_f64 v[228:229], s[16:17], v[148:149], v[226:227]
	v_add_f64 v[232:233], v[232:233], v[236:237]
	v_mul_f64 v[242:243], v[158:159], s[46:47]
	v_fma_f64 v[246:247], v[134:135], s[34:35], -v[244:245]
	v_add_f64 v[250:251], v[12:13], v[250:251]
	v_fmac_f64_e32 v[220:221], s[12:13], v[182:183]
	v_mul_f64 v[218:219], v[180:181], s[28:29]
	v_fma_f64 v[224:225], s[2:3], v[166:167], v[222:223]
	v_add_f64 v[228:229], v[228:229], v[232:233]
	v_mul_f64 v[240:241], v[178:179], s[42:43]
	v_add_f64 v[246:247], v[246:247], v[250:251]
	v_fma_f64 v[250:251], v[140:141], s[16:17], -v[242:243]
	v_fmac_f64_e32 v[110:111], s[2:3], v[190:191]
	v_add_f64 v[100:101], v[220:221], v[100:101]
	v_mul_f64 v[112:113], v[196:197], s[36:37]
	v_fma_f64 v[220:221], s[8:9], v[172:173], v[218:219]
	v_add_f64 v[224:225], v[224:225], v[228:229]
	v_mul_f64 v[236:237], v[184:185], s[28:29]
	v_add_f64 v[246:247], v[250:251], v[246:247]
	v_fma_f64 v[250:251], v[156:157], s[2:3], -v[240:241]
	v_fmac_f64_e32 v[106:107], s[20:21], v[200:201]
	v_add_f64 v[100:101], v[110:111], v[100:101]
	v_mul_f64 v[110:111], v[204:205], s[52:53]
	v_fma_f64 v[114:115], s[30:31], v[194:195], v[112:113]
	v_add_f64 v[220:221], v[220:221], v[224:225]
	v_mul_f64 v[228:229], v[206:207], s[36:37]
	v_fma_f64 v[238:239], v[164:165], s[8:9], -v[236:237]
	v_add_f64 v[246:247], v[250:251], v[246:247]
	v_add_f64 v[100:101], v[106:107], v[100:101]
	v_mul_f64 v[108:109], v[210:211], s[44:45]
	v_fma_f64 v[106:107], s[20:21], v[202:203], v[110:111]
	v_add_f64 v[114:115], v[114:115], v[220:221]
	v_mul_f64 v[220:221], v[208:209], s[52:53]
	v_fma_f64 v[232:233], v[182:183], s[30:31], -v[228:229]
	v_add_f64 v[238:239], v[238:239], v[246:247]
	v_fma_f64 v[104:105], s[6:7], v[212:213], v[108:109]
	v_add_f64 v[106:107], v[106:107], v[114:115]
	v_mul_f64 v[114:115], v[214:215], s[44:45]
	v_fma_f64 v[224:225], v[190:191], s[20:21], -v[220:221]
	v_add_f64 v[232:233], v[232:233], v[238:239]
	v_add_f64 v[106:107], v[104:105], v[106:107]
	v_fma_f64 v[104:105], v[200:201], s[6:7], -v[114:115]
	v_add_f64 v[224:225], v[224:225], v[232:233]
	v_add_f64 v[104:105], v[104:105], v[224:225]
	v_fma_f64 v[224:225], v[148:149], s[16:17], -v[226:227]
	v_fma_f64 v[226:227], v[142:143], s[34:35], -v[230:231]
	;; [unrolled: 1-line block ×3, first 2 shown]
	v_add_f64 v[230:231], v[14:15], v[230:231]
	v_add_f64 v[226:227], v[226:227], v[230:231]
	v_fma_f64 v[222:223], v[166:167], s[2:3], -v[222:223]
	v_add_f64 v[224:225], v[224:225], v[226:227]
	v_fma_f64 v[218:219], v[172:173], s[8:9], -v[218:219]
	;; [unrolled: 2-line block ×5, first 2 shown]
	v_add_f64 v[110:111], v[110:111], v[112:113]
	v_fmac_f64_e32 v[248:249], s[12:13], v[124:125]
	v_add_f64 v[110:111], v[108:109], v[110:111]
	v_fmac_f64_e32 v[244:245], s[34:35], v[134:135]
	;; [unrolled: 2-line block ×3, first 2 shown]
	v_add_f64 v[108:109], v[244:245], v[108:109]
	v_add_f64 v[108:109], v[242:243], v[108:109]
	v_mul_f64 v[242:243], v[146:147], s[28:29]
	v_fmac_f64_e32 v[240:241], s[2:3], v[156:157]
	s_mov_b32 s51, 0x3fc7851a
	s_mov_b32 s50, s38
	v_mul_f64 v[238:239], v[162:163], s[26:27]
	v_fma_f64 v[244:245], s[8:9], v[128:129], v[242:243]
	v_fma_f64 v[242:243], v[128:129], s[8:9], -v[242:243]
	v_fmac_f64_e32 v[236:237], s[8:9], v[164:165]
	v_add_f64 v[108:109], v[240:241], v[108:109]
	v_mul_f64 v[234:235], v[170:171], s[50:51]
	v_fma_f64 v[240:241], s[20:21], v[142:143], v[238:239]
	v_add_f64 v[244:245], v[14:15], v[244:245]
	v_fma_f64 v[238:239], v[142:143], s[20:21], -v[238:239]
	v_add_f64 v[242:243], v[14:15], v[242:243]
	v_add_f64 v[108:109], v[236:237], v[108:109]
	v_mul_f64 v[230:231], v[192:193], s[46:47]
	v_fma_f64 v[236:237], s[34:35], v[148:149], v[234:235]
	v_add_f64 v[240:241], v[240:241], v[244:245]
	v_add_f64 v[238:239], v[238:239], v[242:243]
	v_fma_f64 v[234:235], v[148:149], s[34:35], -v[234:235]
	v_fmac_f64_e32 v[228:229], s[30:31], v[182:183]
	v_mul_f64 v[226:227], v[180:181], s[44:45]
	v_fma_f64 v[232:233], s[16:17], v[166:167], v[230:231]
	v_add_f64 v[236:237], v[236:237], v[240:241]
	v_add_f64 v[234:235], v[234:235], v[238:239]
	v_fma_f64 v[230:231], v[166:167], s[16:17], -v[230:231]
	v_fmac_f64_e32 v[220:221], s[20:21], v[190:191]
	v_add_f64 v[108:109], v[228:229], v[108:109]
	v_mul_f64 v[222:223], v[196:197], s[22:23]
	v_fma_f64 v[228:229], s[6:7], v[172:173], v[226:227]
	v_add_f64 v[232:233], v[232:233], v[236:237]
	v_add_f64 v[230:231], v[230:231], v[234:235]
	v_fma_f64 v[226:227], v[172:173], s[6:7], -v[226:227]
	v_fmac_f64_e32 v[114:115], s[6:7], v[200:201]
	v_add_f64 v[108:109], v[220:221], v[108:109]
	v_mul_f64 v[220:221], v[204:205], s[18:19]
	v_fma_f64 v[224:225], s[2:3], v[194:195], v[222:223]
	v_add_f64 v[228:229], v[228:229], v[232:233]
	v_add_f64 v[226:227], v[226:227], v[230:231]
	v_fma_f64 v[222:223], v[194:195], s[2:3], -v[222:223]
	v_add_f64 v[108:109], v[114:115], v[108:109]
	v_mul_f64 v[218:219], v[210:211], s[36:37]
	v_fma_f64 v[114:115], s[12:13], v[202:203], v[220:221]
	v_add_f64 v[224:225], v[224:225], v[228:229]
	v_mul_f64 v[248:249], v[138:139], s[28:29]
	v_add_f64 v[222:223], v[222:223], v[226:227]
	v_fma_f64 v[220:221], v[202:203], s[12:13], -v[220:221]
	v_fma_f64 v[112:113], s[30:31], v[212:213], v[218:219]
	v_add_f64 v[114:115], v[114:115], v[224:225]
	v_mul_f64 v[246:247], v[150:151], s[26:27]
	v_fma_f64 v[250:251], v[124:125], s[8:9], -v[248:249]
	v_add_f64 v[220:221], v[220:221], v[222:223]
	v_fma_f64 v[218:219], v[212:213], s[30:31], -v[218:219]
	v_fmac_f64_e32 v[248:249], s[8:9], v[124:125]
	v_add_f64 v[114:115], v[112:113], v[114:115]
	v_mul_f64 v[244:245], v[158:159], s[50:51]
	v_fma_f64 v[112:113], v[134:135], s[20:21], -v[246:247]
	v_add_f64 v[250:251], v[12:13], v[250:251]
	v_mul_f64 v[252:253], v[146:147], s[22:23]
	v_add_f64 v[220:221], v[218:219], v[220:221]
	v_fmac_f64_e32 v[246:247], s[20:21], v[134:135]
	v_add_f64 v[218:219], v[12:13], v[248:249]
	v_mul_f64 v[146:147], v[146:147], s[14:15]
	v_mul_f64 v[240:241], v[178:179], s[46:47]
	v_add_f64 v[112:113], v[112:113], v[250:251]
	v_fma_f64 v[250:251], v[140:141], s[34:35], -v[244:245]
	v_mul_f64 v[238:239], v[162:163], s[14:15]
	v_fmac_f64_e32 v[244:245], s[34:35], v[140:141]
	v_add_f64 v[218:219], v[246:247], v[218:219]
	v_mul_f64 v[162:163], v[162:163], s[18:19]
	v_fma_f64 v[246:247], s[6:7], v[128:129], v[146:147]
	v_mul_f64 v[236:237], v[184:185], s[44:45]
	v_add_f64 v[112:113], v[250:251], v[112:113]
	v_fma_f64 v[250:251], v[156:157], s[16:17], -v[240:241]
	v_mul_f64 v[230:231], v[170:171], s[28:29]
	v_fmac_f64_e32 v[240:241], s[16:17], v[156:157]
	v_add_f64 v[218:219], v[244:245], v[218:219]
	v_mul_f64 v[170:171], v[170:171], s[26:27]
	v_fma_f64 v[244:245], s[12:13], v[142:143], v[162:163]
	v_add_f64 v[246:247], v[14:15], v[246:247]
	v_mul_f64 v[232:233], v[206:207], s[22:23]
	v_add_f64 v[112:113], v[250:251], v[112:113]
	v_fma_f64 v[250:251], v[164:165], s[6:7], -v[236:237]
	v_mul_f64 v[254:255], v[192:193], s[18:19]
	v_fmac_f64_e32 v[236:237], s[6:7], v[164:165]
	v_add_f64 v[218:219], v[240:241], v[218:219]
	v_mul_f64 v[192:193], v[192:193], s[38:39]
	v_add_f64 v[244:245], v[244:245], v[246:247]
	v_fma_f64 v[246:247], s[20:21], v[148:149], v[170:171]
	v_mul_f64 v[228:229], v[208:209], s[18:19]
	v_add_f64 v[112:113], v[250:251], v[112:113]
	v_fma_f64 v[250:251], v[182:183], s[2:3], -v[232:233]
	v_fmac_f64_e32 v[232:233], s[2:3], v[182:183]
	v_add_f64 v[218:219], v[236:237], v[218:219]
	v_mul_f64 v[240:241], v[180:181], s[48:49]
	v_add_f64 v[244:245], v[246:247], v[244:245]
	v_fma_f64 v[246:247], s[34:35], v[166:167], v[192:193]
	v_mul_f64 v[224:225], v[214:215], s[36:37]
	v_add_f64 v[112:113], v[250:251], v[112:113]
	v_fma_f64 v[250:251], v[190:191], s[12:13], -v[228:229]
	v_fmac_f64_e32 v[228:229], s[12:13], v[190:191]
	v_add_f64 v[218:219], v[232:233], v[218:219]
	v_mul_f64 v[236:237], v[196:197], s[46:47]
	v_add_f64 v[244:245], v[246:247], v[244:245]
	v_fma_f64 v[246:247], s[30:31], v[172:173], v[240:241]
	v_add_f64 v[10:11], v[14:15], v[10:11]
	v_add_f64 v[8:9], v[12:13], v[8:9]
	;; [unrolled: 1-line block ×3, first 2 shown]
	v_fma_f64 v[250:251], v[200:201], s[30:31], -v[224:225]
	v_fmac_f64_e32 v[224:225], s[30:31], v[200:201]
	v_add_f64 v[218:219], v[228:229], v[218:219]
	v_mul_f64 v[232:233], v[204:205], s[40:41]
	v_add_f64 v[244:245], v[246:247], v[244:245]
	v_fma_f64 v[246:247], s[16:17], v[194:195], v[236:237]
	v_add_f64 v[10:11], v[10:11], v[18:19]
	v_add_f64 v[8:9], v[8:9], v[16:17]
	;; [unrolled: 1-line block ×3, first 2 shown]
	v_mul_f64 v[228:229], v[210:211], s[42:43]
	v_fma_f64 v[224:225], s[8:9], v[202:203], v[232:233]
	v_add_f64 v[244:245], v[246:247], v[244:245]
	v_mul_f64 v[138:139], v[138:139], s[14:15]
	v_add_f64 v[10:11], v[10:11], v[22:23]
	v_add_f64 v[8:9], v[8:9], v[20:21]
	v_fma_f64 v[222:223], s[2:3], v[212:213], v[228:229]
	v_add_f64 v[224:225], v[224:225], v[244:245]
	v_mul_f64 v[150:151], v[150:151], s[18:19]
	v_fma_f64 v[244:245], v[124:125], s[6:7], -v[138:139]
	v_add_f64 v[10:11], v[10:11], v[38:39]
	v_add_f64 v[8:9], v[8:9], v[36:37]
	;; [unrolled: 1-line block ×3, first 2 shown]
	v_mul_f64 v[158:159], v[158:159], s[26:27]
	v_fma_f64 v[222:223], v[134:135], s[12:13], -v[150:151]
	v_add_f64 v[244:245], v[12:13], v[244:245]
	v_add_f64 v[10:11], v[10:11], v[42:43]
	;; [unrolled: 1-line block ×3, first 2 shown]
	v_mul_f64 v[178:179], v[178:179], s[38:39]
	v_add_f64 v[222:223], v[222:223], v[244:245]
	v_fma_f64 v[244:245], v[140:141], s[20:21], -v[158:159]
	v_fma_f64 v[128:129], v[128:129], s[6:7], -v[146:147]
	v_add_f64 v[10:11], v[10:11], v[54:55]
	v_add_f64 v[8:9], v[8:9], v[52:53]
	v_mul_f64 v[184:185], v[184:185], s[48:49]
	v_add_f64 v[222:223], v[244:245], v[222:223]
	v_fma_f64 v[244:245], v[156:157], s[34:35], -v[178:179]
	v_fma_f64 v[142:143], v[142:143], s[12:13], -v[162:163]
	v_add_f64 v[128:129], v[14:15], v[128:129]
	v_fmac_f64_e32 v[138:139], s[6:7], v[124:125]
	v_add_f64 v[122:123], v[122:123], -v[252:253]
	v_add_f64 v[10:11], v[10:11], v[58:59]
	v_add_f64 v[8:9], v[8:9], v[56:57]
	;; [unrolled: 1-line block ×3, first 2 shown]
	v_mul_f64 v[250:251], v[124:125], s[2:3]
	v_mul_f64 v[206:207], v[206:207], s[46:47]
	v_add_f64 v[222:223], v[244:245], v[222:223]
	v_fma_f64 v[244:245], v[164:165], s[30:31], -v[184:185]
	v_fma_f64 v[148:149], v[148:149], s[20:21], -v[170:171]
	v_add_f64 v[128:129], v[142:143], v[128:129]
	v_fmac_f64_e32 v[150:151], s[12:13], v[134:135]
	v_add_f64 v[124:125], v[12:13], v[138:139]
	v_add_f64 v[130:131], v[130:131], -v[238:239]
	v_add_f64 v[122:123], v[14:15], v[122:123]
	v_add_f64 v[10:11], v[10:11], v[66:67]
	;; [unrolled: 1-line block ×3, first 2 shown]
	v_mul_f64 v[242:243], v[134:135], s[6:7]
	v_mul_f64 v[208:209], v[208:209], s[40:41]
	v_add_f64 v[222:223], v[244:245], v[222:223]
	v_fma_f64 v[244:245], v[182:183], s[16:17], -v[206:207]
	v_fma_f64 v[166:167], v[166:167], s[34:35], -v[192:193]
	v_add_f64 v[128:129], v[148:149], v[128:129]
	v_fmac_f64_e32 v[158:159], s[20:21], v[140:141]
	v_add_f64 v[124:125], v[150:151], v[124:125]
	v_add_f64 v[136:137], v[136:137], -v[230:231]
	v_add_f64 v[122:123], v[130:131], v[122:123]
	v_add_f64 v[120:121], v[250:251], v[120:121]
	;; [unrolled: 1-line block ×4, first 2 shown]
	v_mul_f64 v[234:235], v[140:141], s[8:9]
	v_mul_f64 v[214:215], v[214:215], s[42:43]
	v_add_f64 v[222:223], v[244:245], v[222:223]
	v_fma_f64 v[244:245], v[190:191], s[8:9], -v[208:209]
	v_mul_f64 v[180:181], v[180:181], s[24:25]
	v_fma_f64 v[172:173], v[172:173], s[30:31], -v[240:241]
	v_add_f64 v[128:129], v[166:167], v[128:129]
	v_fmac_f64_e32 v[178:179], s[34:35], v[156:157]
	v_add_f64 v[124:125], v[158:159], v[124:125]
	v_add_f64 v[146:147], v[154:155], -v[254:255]
	v_add_f64 v[122:123], v[136:137], v[122:123]
	v_add_f64 v[126:127], v[242:243], v[126:127]
	;; [unrolled: 1-line block ×5, first 2 shown]
	v_mul_f64 v[226:227], v[156:157], s[12:13]
	v_add_f64 v[222:223], v[244:245], v[222:223]
	v_fma_f64 v[244:245], v[200:201], s[2:3], -v[214:215]
	v_mul_f64 v[196:197], v[196:197], s[26:27]
	v_fma_f64 v[194:195], v[194:195], s[16:17], -v[236:237]
	v_add_f64 v[128:129], v[172:173], v[128:129]
	v_fmac_f64_e32 v[184:185], s[30:31], v[164:165]
	v_add_f64 v[124:125], v[178:179], v[124:125]
	v_add_f64 v[138:139], v[160:161], -v[180:181]
	v_add_f64 v[122:123], v[146:147], v[122:123]
	v_add_f64 v[132:133], v[234:235], v[132:133]
	;; [unrolled: 1-line block ×6, first 2 shown]
	v_mul_f64 v[244:245], v[164:165], s[16:17]
	v_fma_f64 v[202:203], v[202:203], s[8:9], -v[232:233]
	v_add_f64 v[128:129], v[194:195], v[128:129]
	v_fmac_f64_e32 v[206:207], s[16:17], v[182:183]
	v_add_f64 v[124:125], v[184:185], v[124:125]
	v_add_f64 v[134:135], v[176:177], -v[196:197]
	v_add_f64 v[122:123], v[138:139], v[122:123]
	v_add_f64 v[136:137], v[226:227], v[144:145]
	;; [unrolled: 1-line block ×5, first 2 shown]
	v_mul_f64 v[246:247], v[182:183], s[20:21]
	v_fma_f64 v[212:213], v[212:213], s[2:3], -v[228:229]
	v_mul_f64 v[204:205], v[204:205], s[36:37]
	v_add_f64 v[128:129], v[202:203], v[128:129]
	v_fmac_f64_e32 v[208:209], s[8:9], v[190:191]
	v_add_f64 v[124:125], v[206:207], v[124:125]
	v_add_f64 v[122:123], v[134:135], v[122:123]
	;; [unrolled: 1-line block ×6, first 2 shown]
	v_mul_f64 v[228:229], v[190:191], s[30:31]
	v_mul_f64 v[210:211], v[210:211], s[38:39]
	v_add_f64 v[142:143], v[212:213], v[128:129]
	v_fmac_f64_e32 v[214:215], s[2:3], v[200:201]
	v_add_f64 v[124:125], v[208:209], v[124:125]
	v_add_f64 v[128:129], v[186:187], -v[204:205]
	v_add_f64 v[130:131], v[246:247], v[168:169]
	v_add_f64 v[120:121], v[134:135], v[120:121]
	;; [unrolled: 1-line block ×4, first 2 shown]
	v_mul_f64 v[232:233], v[200:201], s[34:35]
	v_add_f64 v[140:141], v[214:215], v[124:125]
	v_add_f64 v[124:125], v[198:199], -v[210:211]
	v_add_f64 v[122:123], v[128:129], v[122:123]
	v_add_f64 v[128:129], v[228:229], v[174:175]
	;; [unrolled: 1-line block ×10, first 2 shown]
	v_lshl_add_u32 v8, v118, 8, v216
	v_add_f64 v[120:121], v[124:125], v[120:121]
	ds_write_b128 v8, v[4:7]
	ds_write_b128 v8, v[120:123] offset:16
	ds_write_b128 v8, v[140:143] offset:32
	ds_write_b128 v8, v[218:221] offset:48
	ds_write_b128 v8, v[108:111] offset:64
	ds_write_b128 v8, v[100:103] offset:80
	ds_write_b128 v8, v[92:95] offset:96
	ds_write_b128 v8, v[84:87] offset:112
	ds_write_b128 v8, v[76:79] offset:128
	ds_write_b128 v8, v[72:75] offset:144
	ds_write_b128 v8, v[80:83] offset:160
	ds_write_b128 v8, v[88:91] offset:176
	ds_write_b128 v8, v[96:99] offset:192
	ds_write_b128 v8, v[104:107] offset:208
	ds_write_b128 v8, v[112:115] offset:224
	ds_write_b128 v8, v[222:225] offset:240
	ds_write_b128 v8, v[0:3] offset:256
.LBB0_13:
	s_or_b64 exec, exec, s[10:11]
	s_movk_i32 s2, 0xf1
	v_mul_lo_u16_sdwa v6, v118, s2 dst_sel:DWORD dst_unused:UNUSED_PAD src0_sel:BYTE_0 src1_sel:DWORD
	v_lshrrev_b16_e32 v114, 12, v6
	v_add_u16_e32 v91, 0x77, v118
	v_mul_lo_u16_e32 v5, 17, v114
	v_mul_lo_u16_sdwa v7, v91, s2 dst_sel:DWORD dst_unused:UNUSED_PAD src0_sel:BYTE_0 src1_sel:DWORD
	v_add_u32_e32 v85, 0xee, v118
	v_sub_u16_e32 v5, v118, v5
	v_mov_b32_e32 v89, 4
	v_lshrrev_b16_e32 v119, 12, v7
	s_mov_b32 s2, 0xf0f1
	v_lshlrev_b32_sdwa v115, v89, v5 dst_sel:DWORD dst_unused:UNUSED_PAD src0_sel:DWORD src1_sel:BYTE_0
	v_mul_lo_u16_e32 v5, 17, v119
	v_mul_u32_u24_sdwa v87, v85, s2 dst_sel:DWORD dst_unused:UNUSED_PAD src0_sel:WORD_0 src1_sel:DWORD
	v_sub_u16_e32 v5, v91, v5
	v_lshrrev_b32_e32 v129, 20, v87
	v_lshlrev_b32_sdwa v128, v89, v5 dst_sel:DWORD dst_unused:UNUSED_PAD src0_sel:DWORD src1_sel:BYTE_0
	v_mul_lo_u16_e32 v5, 17, v129
	v_add_u32_e32 v4, 0x341, v118
	v_sub_u16_e32 v5, v85, v5
	v_lshlrev_b32_e32 v130, 4, v5
	v_mul_u32_u24_sdwa v5, v4, s2 dst_sel:DWORD dst_unused:UNUSED_PAD src0_sel:WORD_0 src1_sel:DWORD
	v_lshrrev_b32_e32 v131, 20, v5
	v_mul_lo_u16_e32 v8, 17, v131
	v_sub_u16_e32 v8, v4, v8
	s_waitcnt lgkmcnt(0)
	s_barrier
	global_load_dwordx4 v[10:13], v115, s[4:5]
	global_load_dwordx4 v[14:17], v128, s[4:5]
	global_load_dwordx4 v[18:21], v130, s[4:5]
	v_lshlrev_b32_e32 v132, 4, v8
	global_load_dwordx4 v[22:25], v132, s[4:5]
	v_add_u32_e32 v88, 0x1dc, v118
	v_add_u32_e32 v84, 0x165, v118
	v_mul_u32_u24_sdwa v8, v84, s2 dst_sel:DWORD dst_unused:UNUSED_PAD src0_sel:WORD_0 src1_sel:DWORD
	v_mul_u32_u24_sdwa v9, v88, s2 dst_sel:DWORD dst_unused:UNUSED_PAD src0_sel:WORD_0 src1_sel:DWORD
	v_lshrrev_b32_e32 v133, 20, v8
	v_lshrrev_b32_e32 v134, 20, v9
	v_mul_lo_u16_e32 v26, 17, v133
	v_mul_lo_u16_e32 v30, 17, v134
	v_sub_u16_e32 v26, v84, v26
	v_sub_u16_e32 v30, v88, v30
	v_add_u32_e32 v90, 0x253, v118
	v_lshlrev_b32_e32 v135, 4, v26
	v_lshlrev_b32_e32 v136, 4, v30
	v_add_u32_e32 v86, 0x2ca, v118
	v_mul_u32_u24_sdwa v137, v90, s2 dst_sel:DWORD dst_unused:UNUSED_PAD src0_sel:WORD_0 src1_sel:DWORD
	global_load_dwordx4 v[26:29], v135, s[4:5]
	global_load_dwordx4 v[30:33], v136, s[4:5]
	v_mul_u32_u24_sdwa v138, v86, s2 dst_sel:DWORD dst_unused:UNUSED_PAD src0_sel:WORD_0 src1_sel:DWORD
	v_lshrrev_b32_e32 v139, 20, v137
	v_lshrrev_b32_e32 v140, 20, v138
	v_mul_lo_u16_e32 v58, 17, v139
	v_mul_lo_u16_e32 v62, 17, v140
	v_sub_u16_e32 v58, v90, v58
	v_lshlrev_b32_e32 v141, 4, v58
	v_sub_u16_e32 v62, v86, v62
	ds_read_b128 v[34:37], v216
	ds_read_b128 v[38:41], v216 offset:1904
	ds_read_b128 v[42:45], v216 offset:15232
	;; [unrolled: 1-line block ×5, first 2 shown]
	global_load_dwordx4 v[58:61], v141, s[4:5]
	v_lshlrev_b32_e32 v142, 4, v62
	global_load_dwordx4 v[62:65], v142, s[4:5]
	ds_read_b128 v[66:69], v216 offset:22848
	ds_read_b128 v[70:73], v216 offset:24752
	;; [unrolled: 1-line block ×6, first 2 shown]
	v_lshl_add_u32 v97, v84, 4, 0
	s_mov_b32 s2, 0x5040100
	v_lshl_add_u32 v96, v88, 4, 0
	v_lshl_add_u32 v95, v90, 4, 0
	;; [unrolled: 1-line block ×3, first 2 shown]
	ds_read_b128 v[106:109], v97
	ds_read_b128 v[110:113], v96
	;; [unrolled: 1-line block ×4, first 2 shown]
	s_movk_i32 s3, 0x220
	s_waitcnt lgkmcnt(0)
	s_barrier
	v_cmp_gt_u32_e32 vcc, 34, v118
	s_waitcnt vmcnt(7)
	v_mul_f64 v[82:83], v[44:45], v[12:13]
	v_mul_f64 v[12:13], v[42:43], v[12:13]
	s_waitcnt vmcnt(6)
	v_mul_f64 v[92:93], v[48:49], v[16:17]
	v_fmac_f64_e32 v[82:83], v[42:43], v[10:11]
	v_fma_f64 v[12:13], v[44:45], v[10:11], -v[12:13]
	s_waitcnt vmcnt(5)
	v_mul_f64 v[10:11], v[50:51], v[20:21]
	v_mul_f64 v[16:17], v[46:47], v[16:17]
	v_fmac_f64_e32 v[92:93], v[46:47], v[14:15]
	v_mul_f64 v[44:45], v[52:53], v[20:21]
	v_fma_f64 v[46:47], v[52:53], v[18:19], -v[10:11]
	s_waitcnt vmcnt(4)
	v_mul_f64 v[10:11], v[102:103], v[24:25]
	v_fmac_f64_e32 v[44:45], v[50:51], v[18:19]
	v_fma_f64 v[50:51], v[104:105], v[22:23], -v[10:11]
	v_add_f64 v[10:11], v[34:35], -v[82:83]
	v_fma_f64 v[42:43], v[48:49], v[14:15], -v[16:17]
	v_mul_f64 v[48:49], v[104:105], v[24:25]
	v_fma_f64 v[14:15], v[34:35], 2.0, -v[10:11]
	v_add_f64 v[18:19], v[38:39], -v[92:93]
	v_add_f64 v[34:35], v[74:75], -v[44:45]
	;; [unrolled: 1-line block ×3, first 2 shown]
	v_mul_u32_u24_e32 v50, 0x220, v114
	v_fmac_f64_e32 v[48:49], v[102:103], v[22:23]
	v_add_f64 v[12:13], v[36:37], -v[12:13]
	v_fma_f64 v[22:23], v[38:39], 2.0, -v[18:19]
	v_fma_f64 v[38:39], v[74:75], 2.0, -v[34:35]
	v_add3_u32 v74, 0, v50, v115
	v_mul_u32_u24_e32 v50, 0x220, v119
	v_fma_f64 v[16:17], v[36:37], 2.0, -v[12:13]
	v_add_f64 v[20:21], v[40:41], -v[42:43]
	v_add_f64 v[36:37], v[76:77], -v[46:47]
	v_add3_u32 v75, 0, v50, v128
	v_mul_u32_u24_e32 v50, 0x220, v129
	v_fma_f64 v[24:25], v[40:41], 2.0, -v[20:21]
	v_fma_f64 v[40:41], v[76:77], 2.0, -v[36:37]
	v_add3_u32 v76, 0, v50, v130
	s_waitcnt vmcnt(3)
	v_mul_f64 v[50:51], v[56:57], v[28:29]
	v_mul_f64 v[28:29], v[54:55], v[28:29]
	s_waitcnt vmcnt(2)
	v_mul_f64 v[52:53], v[68:69], v[32:33]
	v_lshrrev_b16_e32 v82, 13, v6
	v_fmac_f64_e32 v[50:51], v[54:55], v[26:27]
	v_fma_f64 v[28:29], v[56:57], v[26:27], -v[28:29]
	v_fmac_f64_e32 v[52:53], v[66:67], v[30:31]
	v_mul_f64 v[26:27], v[66:67], v[32:33]
	v_perm_b32 v66, v134, v133, s2
	v_mul_lo_u16_e32 v6, 34, v82
	v_pk_mul_lo_u16 v66, v66, s3 op_sel_hi:[1,0]
	v_sub_u16_e32 v6, v118, v6
	v_lshrrev_b16_e32 v92, 13, v7
	v_add_f64 v[42:43], v[78:79], -v[48:49]
	v_fma_f64 v[54:55], v[68:69], v[30:31], -v[26:27]
	v_and_b32_e32 v67, 0xffe0, v66
	v_lshrrev_b32_e32 v66, 16, v66
	v_lshlrev_b32_sdwa v83, v89, v6 dst_sel:DWORD dst_unused:UNUSED_PAD src0_sel:DWORD src1_sel:BYTE_0
	v_mul_lo_u16_e32 v6, 34, v92
	v_fma_f64 v[46:47], v[78:79], 2.0, -v[42:43]
	v_add_f64 v[26:27], v[106:107], -v[50:51]
	v_add_f64 v[28:29], v[108:109], -v[28:29]
	;; [unrolled: 1-line block ×4, first 2 shown]
	v_add3_u32 v77, 0, v67, v135
	v_add3_u32 v78, 0, v66, v136
	s_waitcnt vmcnt(1)
	v_mul_f64 v[66:67], v[72:73], v[60:61]
	v_mul_f64 v[60:61], v[70:71], v[60:61]
	v_sub_u16_e32 v6, v91, v6
	v_lshrrev_b32_e32 v114, 21, v87
	v_fma_f64 v[30:31], v[106:107], 2.0, -v[26:27]
	v_fma_f64 v[32:33], v[108:109], 2.0, -v[28:29]
	;; [unrolled: 1-line block ×4, first 2 shown]
	v_fmac_f64_e32 v[66:67], v[70:71], v[58:59]
	v_fma_f64 v[60:61], v[72:73], v[58:59], -v[60:61]
	s_waitcnt vmcnt(0)
	v_mul_f64 v[68:69], v[100:101], v[64:65]
	v_mul_f64 v[58:59], v[98:99], v[64:65]
	ds_write_b128 v74, v[14:17]
	ds_write_b128 v74, v[10:13] offset:272
	ds_write_b128 v75, v[22:25]
	ds_write_b128 v75, v[18:21] offset:272
	;; [unrolled: 2-line block ×5, first 2 shown]
	v_perm_b32 v10, v140, v139, s2
	v_lshlrev_b32_sdwa v93, v89, v6 dst_sel:DWORD dst_unused:UNUSED_PAD src0_sel:DWORD src1_sel:BYTE_0
	v_mul_lo_u16_e32 v6, 34, v114
	v_fmac_f64_e32 v[68:69], v[98:99], v[62:63]
	v_fma_f64 v[70:71], v[100:101], v[62:63], -v[58:59]
	v_pk_mul_lo_u16 v10, v10, s3 op_sel_hi:[1,0]
	v_sub_u16_e32 v6, v85, v6
	v_lshrrev_b32_e32 v119, 21, v8
	v_add_f64 v[58:59], v[120:121], -v[66:67]
	v_add_f64 v[60:61], v[122:123], -v[60:61]
	;; [unrolled: 1-line block ×4, first 2 shown]
	v_and_b32_e32 v11, 0xffe0, v10
	v_lshrrev_b32_e32 v10, 16, v10
	v_lshlrev_b32_e32 v115, 4, v6
	v_mul_lo_u16_e32 v6, 34, v119
	v_fma_f64 v[62:63], v[120:121], 2.0, -v[58:59]
	v_fma_f64 v[64:65], v[122:123], 2.0, -v[60:61]
	;; [unrolled: 1-line block ×4, first 2 shown]
	v_add3_u32 v11, 0, v11, v141
	v_add3_u32 v10, 0, v10, v142
	v_sub_u16_e32 v6, v84, v6
	v_lshrrev_b32_e32 v125, 21, v9
	ds_write_b128 v11, v[62:65]
	ds_write_b128 v11, v[58:61] offset:272
	ds_write_b128 v10, v[70:73]
	ds_write_b128 v10, v[66:69] offset:272
	v_mul_u32_u24_e32 v10, 0x220, v131
	v_lshlrev_b32_e32 v124, 4, v6
	v_mul_lo_u16_e32 v6, 34, v125
	v_fma_f64 v[48:49], v[80:81], 2.0, -v[44:45]
	v_add3_u32 v10, 0, v10, v132
	v_sub_u16_e32 v6, v88, v6
	v_lshrrev_b32_e32 v127, 21, v137
	ds_write_b128 v10, v[46:49]
	ds_write_b128 v10, v[42:45] offset:272
	s_waitcnt lgkmcnt(0)
	s_barrier
	global_load_dwordx4 v[10:13], v83, s[4:5] offset:272
	global_load_dwordx4 v[14:17], v93, s[4:5] offset:272
	v_lshlrev_b32_e32 v126, 4, v6
	v_mul_lo_u16_e32 v6, 34, v127
	v_lshrrev_b32_e32 v129, 21, v138
	v_sub_u16_e32 v26, v90, v6
	v_mul_lo_u16_e32 v30, 34, v129
	v_lshrrev_b32_e32 v131, 21, v5
	global_load_dwordx4 v[18:21], v115, s[4:5] offset:272
	global_load_dwordx4 v[22:25], v124, s[4:5] offset:272
	v_lshlrev_b32_e32 v128, 4, v26
	v_sub_u16_e32 v30, v86, v30
	v_mul_lo_u16_e32 v5, 34, v131
	global_load_dwordx4 v[6:9], v126, s[4:5] offset:272
	global_load_dwordx4 v[26:29], v128, s[4:5] offset:272
	v_lshlrev_b32_e32 v130, 4, v30
	v_sub_u16_e32 v4, v4, v5
	global_load_dwordx4 v[30:33], v130, s[4:5] offset:272
	v_lshlrev_b32_e32 v132, 4, v4
	global_load_dwordx4 v[34:37], v132, s[4:5] offset:272
	ds_read_b128 v[38:41], v216
	ds_read_b128 v[42:45], v216 offset:1904
	ds_read_b128 v[46:49], v216 offset:15232
	;; [unrolled: 1-line block ×5, first 2 shown]
	ds_read_b128 v[62:65], v97
	ds_read_b128 v[66:69], v96
	ds_read_b128 v[70:73], v216 offset:22848
	ds_read_b128 v[74:77], v216 offset:24752
	ds_read_b128 v[78:81], v95
	ds_read_b128 v[98:101], v94
	ds_read_b128 v[102:105], v216 offset:3808
	ds_read_b128 v[106:109], v216 offset:13328
	;; [unrolled: 1-line block ×4, first 2 shown]
	s_waitcnt lgkmcnt(0)
	s_barrier
	s_movk_i32 s3, 0x440
	s_waitcnt vmcnt(7)
	v_mul_f64 v[4:5], v[48:49], v[12:13]
	v_mul_f64 v[12:13], v[46:47], v[12:13]
	v_fmac_f64_e32 v[4:5], v[46:47], v[10:11]
	v_fma_f64 v[10:11], v[48:49], v[10:11], -v[12:13]
	s_waitcnt vmcnt(6)
	v_mul_f64 v[46:47], v[52:53], v[16:17]
	v_mul_f64 v[12:13], v[50:51], v[16:17]
	v_fmac_f64_e32 v[46:47], v[50:51], v[14:15]
	v_fma_f64 v[48:49], v[52:53], v[14:15], -v[12:13]
	;; [unrolled: 5-line block ×4, first 2 shown]
	s_waitcnt vmcnt(3)
	v_mul_f64 v[58:59], v[72:73], v[8:9]
	v_mul_f64 v[8:9], v[70:71], v[8:9]
	s_waitcnt vmcnt(2)
	v_mul_f64 v[12:13], v[74:75], v[28:29]
	v_fmac_f64_e32 v[58:59], v[70:71], v[6:7]
	v_fma_f64 v[6:7], v[72:73], v[6:7], -v[8:9]
	v_fma_f64 v[60:61], v[76:77], v[26:27], -v[12:13]
	s_waitcnt vmcnt(1)
	v_mul_f64 v[12:13], v[110:111], v[32:33]
	v_fma_f64 v[72:73], v[112:113], v[30:31], -v[12:13]
	s_waitcnt vmcnt(0)
	v_mul_f64 v[12:13], v[120:121], v[36:37]
	v_add_f64 v[20:21], v[42:43], -v[46:47]
	v_add_f64 v[46:47], v[68:69], -v[6:7]
	v_mul_f64 v[8:9], v[76:77], v[28:29]
	v_fma_f64 v[76:77], v[122:123], v[34:35], -v[12:13]
	v_add_f64 v[12:13], v[38:39], -v[4:5]
	v_add_f64 v[14:15], v[40:41], -v[10:11]
	;; [unrolled: 1-line block ×3, first 2 shown]
	v_fma_f64 v[50:51], v[68:69], 2.0, -v[46:47]
	v_mul_u32_u24_e32 v68, 0x440, v82
	v_fma_f64 v[16:17], v[38:39], 2.0, -v[12:13]
	v_fma_f64 v[18:19], v[40:41], 2.0, -v[14:15]
	v_add3_u32 v68, 0, v68, v83
	v_add_f64 v[22:23], v[44:45], -v[48:49]
	ds_write_b128 v68, v[16:19]
	ds_write_b128 v68, v[12:15] offset:544
	v_mul_u32_u24_e32 v12, 0x440, v92
	v_fmac_f64_e32 v[8:9], v[74:75], v[26:27]
	v_mul_f64 v[70:71], v[112:113], v[32:33]
	v_fma_f64 v[24:25], v[42:43], 2.0, -v[20:21]
	v_fma_f64 v[26:27], v[44:45], 2.0, -v[22:23]
	v_add3_u32 v12, 0, v12, v93
	v_fmac_f64_e32 v[70:71], v[110:111], v[30:31]
	v_mul_f64 v[74:75], v[122:123], v[36:37]
	v_add_f64 v[30:31], v[104:105], -v[52:53]
	ds_write_b128 v12, v[24:27]
	ds_write_b128 v12, v[20:23] offset:544
	v_mul_u32_u24_e32 v12, 0x440, v114
	v_fmac_f64_e32 v[74:75], v[120:121], v[34:35]
	v_fma_f64 v[32:33], v[102:103], 2.0, -v[28:29]
	v_fma_f64 v[34:35], v[104:105], 2.0, -v[30:31]
	v_add3_u32 v12, 0, v12, v115
	ds_write_b128 v12, v[32:35]
	ds_write_b128 v12, v[28:31] offset:544
	v_perm_b32 v12, v125, v119, s2
	v_pk_mul_lo_u16 v12, v12, s3 op_sel_hi:[1,0]
	v_add_f64 v[36:37], v[62:63], -v[54:55]
	v_add_f64 v[38:39], v[64:65], -v[56:57]
	;; [unrolled: 1-line block ×3, first 2 shown]
	v_and_b32_e32 v13, 0xffc0, v12
	v_lshrrev_b32_e32 v12, 16, v12
	v_fma_f64 v[40:41], v[62:63], 2.0, -v[36:37]
	v_fma_f64 v[42:43], v[64:65], 2.0, -v[38:39]
	;; [unrolled: 1-line block ×3, first 2 shown]
	v_add3_u32 v13, 0, v13, v124
	v_add3_u32 v12, 0, v12, v126
	ds_write_b128 v13, v[40:43]
	ds_write_b128 v13, v[36:39] offset:544
	ds_write_b128 v12, v[48:51]
	ds_write_b128 v12, v[44:47] offset:544
	v_perm_b32 v12, v129, v127, s2
	v_pk_mul_lo_u16 v12, v12, s3 op_sel_hi:[1,0]
	v_add_f64 v[52:53], v[78:79], -v[8:9]
	v_add_f64 v[54:55], v[80:81], -v[60:61]
	;; [unrolled: 1-line block ×4, first 2 shown]
	v_and_b32_e32 v13, 0xffc0, v12
	v_lshrrev_b32_e32 v12, 16, v12
	v_fma_f64 v[56:57], v[78:79], 2.0, -v[52:53]
	v_fma_f64 v[58:59], v[80:81], 2.0, -v[54:55]
	;; [unrolled: 1-line block ×4, first 2 shown]
	v_add3_u32 v13, 0, v13, v128
	v_add3_u32 v12, 0, v12, v130
	v_add_f64 v[8:9], v[106:107], -v[74:75]
	v_add_f64 v[10:11], v[108:109], -v[76:77]
	ds_write_b128 v13, v[56:59]
	ds_write_b128 v13, v[52:55] offset:544
	ds_write_b128 v12, v[64:67]
	ds_write_b128 v12, v[60:63] offset:544
	v_mul_u32_u24_e32 v12, 0x440, v131
	v_fma_f64 v[4:5], v[106:107], 2.0, -v[8:9]
	v_fma_f64 v[6:7], v[108:109], 2.0, -v[10:11]
	v_add3_u32 v12, 0, v12, v132
	ds_write_b128 v12, v[4:7]
	ds_write_b128 v12, v[8:11] offset:544
	s_waitcnt lgkmcnt(0)
	s_barrier
	ds_read_b128 v[32:35], v216
	ds_read_b128 v[28:31], v216 offset:1904
	ds_read_b128 v[60:63], v216 offset:4352
	;; [unrolled: 1-line block ×13, first 2 shown]
                                        ; implicit-def: $vgpr26_vgpr27
                                        ; implicit-def: $vgpr22_vgpr23
                                        ; implicit-def: $vgpr18_vgpr19
                                        ; implicit-def: $vgpr14_vgpr15
	s_and_saveexec_b64 s[2:3], vcc
	s_cbranch_execz .LBB0_15
; %bb.14:
	ds_read_b128 v[4:7], v216 offset:3808
	ds_read_b128 v[8:11], v216 offset:8160
	;; [unrolled: 1-line block ×7, first 2 shown]
.LBB0_15:
	s_or_b64 exec, exec, s[2:3]
	s_movk_i32 s2, 0x44
	v_add_u32_e32 v92, 0xffffffbc, v118
	v_cmp_gt_u32_e64 s[2:3], s2, v118
	v_mov_b32_e32 v93, 0
	s_mov_b32 s10, 0x37e14327
	v_cndmask_b32_e64 v98, v92, v118, s[2:3]
	v_mul_i32_i24_e32 v92, 6, v98
	s_movk_i32 s2, 0x79
	v_lshl_add_u64 v[128:129], v[92:93], 4, s[4:5]
	v_mul_lo_u16_sdwa v99, v91, s2 dst_sel:DWORD dst_unused:UNUSED_PAD src0_sel:BYTE_0 src1_sel:DWORD
	global_load_dwordx4 v[100:103], v[128:129], off offset:816
	global_load_dwordx4 v[104:107], v[128:129], off offset:832
	;; [unrolled: 1-line block ×6, first 2 shown]
	v_lshrrev_b16_e32 v99, 13, v99
	v_mul_lo_u16_e32 v119, 0x44, v99
	v_mov_b32_e32 v92, 6
	v_sub_u16_e32 v91, v91, v119
	v_mul_u32_u24_sdwa v92, v91, v92 dst_sel:DWORD dst_unused:UNUSED_PAD src0_sel:BYTE_0 src1_sel:DWORD
	v_lshlrev_b32_e32 v92, 4, v92
	global_load_dwordx4 v[128:131], v92, s[4:5] offset:816
	global_load_dwordx4 v[132:135], v92, s[4:5] offset:832
	;; [unrolled: 1-line block ×6, first 2 shown]
	s_mov_b32 s12, 0x36b3c0b5
	s_mov_b32 s16, 0xe976ee23
	;; [unrolled: 1-line block ×19, first 2 shown]
	s_movk_i32 s2, 0x43
	v_mov_b32_e32 v92, 0x1dc0
	v_cmp_lt_u32_e64 s[2:3], s2, v118
	v_lshlrev_b32_e32 v98, 4, v98
	s_waitcnt lgkmcnt(0)
	v_cndmask_b32_e64 v92, 0, v92, s[2:3]
	v_add3_u32 v92, 0, v92, v98
	s_barrier
	s_waitcnt vmcnt(11)
	v_mul_f64 v[152:153], v[62:63], v[102:103]
	v_mul_f64 v[102:103], v[60:61], v[102:103]
	s_waitcnt vmcnt(10)
	v_mul_f64 v[154:155], v[66:67], v[106:107]
	s_waitcnt vmcnt(9)
	v_mul_f64 v[156:157], v[70:71], v[110:111]
	v_mul_f64 v[110:111], v[68:69], v[110:111]
	s_waitcnt vmcnt(7)
	v_mul_f64 v[160:161], v[78:79], v[122:123]
	s_waitcnt vmcnt(6)
	v_mul_f64 v[162:163], v[82:83], v[126:127]
	v_mul_f64 v[126:127], v[80:81], v[126:127]
	v_mul_f64 v[106:107], v[64:65], v[106:107]
	v_mul_f64 v[158:159], v[74:75], v[114:115]
	v_mul_f64 v[114:115], v[72:73], v[114:115]
	v_mul_f64 v[122:123], v[76:77], v[122:123]
	v_fmac_f64_e32 v[152:153], v[60:61], v[100:101]
	v_fma_f64 v[60:61], v[62:63], v[100:101], -v[102:103]
	v_fmac_f64_e32 v[154:155], v[64:65], v[104:105]
	v_fma_f64 v[64:65], v[70:71], v[108:109], -v[110:111]
	v_fmac_f64_e32 v[160:161], v[76:77], v[120:121]
	v_fmac_f64_e32 v[162:163], v[80:81], v[124:125]
	v_fma_f64 v[70:71], v[82:83], v[124:125], -v[126:127]
	v_fma_f64 v[62:63], v[66:67], v[104:105], -v[106:107]
	v_fmac_f64_e32 v[156:157], v[68:69], v[108:109]
	v_fmac_f64_e32 v[158:159], v[72:73], v[112:113]
	v_fma_f64 v[66:67], v[74:75], v[112:113], -v[114:115]
	v_fma_f64 v[68:69], v[78:79], v[120:121], -v[122:123]
	v_add_f64 v[72:73], v[152:153], v[162:163]
	v_add_f64 v[74:75], v[60:61], v[70:71]
	v_add_f64 v[60:61], v[60:61], -v[70:71]
	v_add_f64 v[70:71], v[154:155], v[160:161]
	v_add_f64 v[78:79], v[62:63], v[68:69]
	v_add_f64 v[62:63], v[62:63], -v[68:69]
	;; [unrolled: 3-line block ×3, first 2 shown]
	s_waitcnt vmcnt(5)
	v_mul_f64 v[66:67], v[38:39], v[130:131]
	v_mul_f64 v[102:103], v[36:37], v[130:131]
	s_waitcnt vmcnt(4)
	v_mul_f64 v[104:105], v[42:43], v[134:135]
	s_waitcnt vmcnt(3)
	v_mul_f64 v[108:109], v[46:47], v[138:139]
	v_add_f64 v[130:131], v[70:71], v[72:73]
	v_mul_f64 v[106:107], v[40:41], v[134:135]
	v_mul_f64 v[110:111], v[44:45], v[138:139]
	v_add_f64 v[134:135], v[78:79], v[74:75]
	v_fmac_f64_e32 v[104:105], v[40:41], v[132:133]
	v_fmac_f64_e32 v[108:109], v[44:45], v[136:137]
	v_add_f64 v[40:41], v[72:73], -v[68:69]
	v_add_f64 v[44:45], v[68:69], -v[70:71]
	v_add_f64 v[68:69], v[68:69], v[130:131]
	v_add_f64 v[76:77], v[152:153], -v[162:163]
	v_add_f64 v[80:81], v[154:155], -v[160:161]
	;; [unrolled: 1-line block ×3, first 2 shown]
	s_waitcnt vmcnt(2)
	v_mul_f64 v[112:113], v[50:51], v[142:143]
	v_mul_f64 v[114:115], v[48:49], v[142:143]
	s_waitcnt vmcnt(1)
	v_mul_f64 v[120:121], v[54:55], v[146:147]
	v_mul_f64 v[122:123], v[52:53], v[146:147]
	s_waitcnt vmcnt(0)
	v_mul_f64 v[126:127], v[56:57], v[150:151]
	v_fmac_f64_e32 v[66:67], v[36:37], v[128:129]
	v_add_f64 v[36:37], v[70:71], -v[72:73]
	v_add_f64 v[70:71], v[82:83], v[134:135]
	v_add_f64 v[32:33], v[32:33], v[68:69]
	v_mul_f64 v[124:125], v[58:59], v[150:151]
	v_fma_f64 v[102:103], v[38:39], v[128:129], -v[102:103]
	v_fma_f64 v[106:107], v[42:43], v[132:133], -v[106:107]
	;; [unrolled: 1-line block ×3, first 2 shown]
	v_fmac_f64_e32 v[112:113], v[48:49], v[140:141]
	v_fma_f64 v[114:115], v[50:51], v[140:141], -v[114:115]
	v_fmac_f64_e32 v[120:121], v[52:53], v[144:145]
	v_fma_f64 v[122:123], v[54:55], v[144:145], -v[122:123]
	v_fma_f64 v[126:127], v[58:59], v[148:149], -v[126:127]
	v_add_f64 v[38:39], v[78:79], -v[74:75]
	v_add_f64 v[42:43], v[74:75], -v[82:83]
	;; [unrolled: 1-line block ×3, first 2 shown]
	v_add_f64 v[48:49], v[100:101], v[80:81]
	v_add_f64 v[50:51], v[64:65], v[62:63]
	v_add_f64 v[52:53], v[100:101], -v[80:81]
	v_add_f64 v[54:55], v[64:65], -v[62:63]
	;; [unrolled: 1-line block ×4, first 2 shown]
	v_add_f64 v[34:35], v[34:35], v[70:71]
	v_mov_b64_e32 v[78:79], v[32:33]
	v_fmac_f64_e32 v[124:125], v[56:57], v[148:149]
	v_add_f64 v[56:57], v[76:77], -v[100:101]
	v_add_f64 v[62:63], v[62:63], -v[60:61]
	v_add_f64 v[48:49], v[48:49], v[76:77]
	v_add_f64 v[50:51], v[50:51], v[60:61]
	v_mul_f64 v[42:43], v[42:43], s[10:11]
	v_mul_f64 v[60:61], v[44:45], s[12:13]
	;; [unrolled: 1-line block ×6, first 2 shown]
	v_fmac_f64_e32 v[78:79], s[14:15], v[68:69]
	v_mov_b64_e32 v[68:69], v[34:35]
	v_mul_f64 v[40:41], v[40:41], s[10:11]
	v_mul_f64 v[54:55], v[62:63], s[6:7]
	v_fmac_f64_e32 v[68:69], s[14:15], v[70:71]
	v_fma_f64 v[60:61], v[36:37], s[8:9], -v[60:61]
	v_fma_f64 v[70:71], v[38:39], s[8:9], -v[72:73]
	;; [unrolled: 1-line block ×3, first 2 shown]
	v_fmac_f64_e32 v[42:43], s[12:13], v[46:47]
	v_fma_f64 v[64:65], v[64:65], s[6:7], -v[74:75]
	v_fmac_f64_e32 v[74:75], s[24:25], v[56:57]
	v_fma_f64 v[62:63], v[62:63], s[6:7], -v[76:77]
	v_fma_f64 v[56:57], v[56:57], s[22:23], -v[52:53]
	;; [unrolled: 1-line block ×3, first 2 shown]
	v_fmac_f64_e32 v[40:41], s[12:13], v[44:45]
	v_fmac_f64_e32 v[76:77], s[24:25], v[58:59]
	v_fma_f64 v[52:53], v[58:59], s[22:23], -v[54:55]
	v_add_f64 v[72:73], v[42:43], v[68:69]
	v_add_f64 v[54:55], v[60:61], v[78:79]
	;; [unrolled: 1-line block ×4, first 2 shown]
	v_fmac_f64_e32 v[64:65], s[18:19], v[48:49]
	v_fmac_f64_e32 v[62:63], s[18:19], v[50:51]
	;; [unrolled: 1-line block ×3, first 2 shown]
	v_add_f64 v[58:59], v[40:41], v[78:79]
	v_add_f64 v[70:71], v[36:37], v[78:79]
	v_fmac_f64_e32 v[74:75], s[18:19], v[48:49]
	v_fmac_f64_e32 v[76:77], s[18:19], v[50:51]
	;; [unrolled: 1-line block ×3, first 2 shown]
	v_add_f64 v[42:43], v[68:69], -v[56:57]
	v_add_f64 v[44:45], v[54:55], -v[62:63]
	v_add_f64 v[46:47], v[64:65], v[60:61]
	v_add_f64 v[48:49], v[62:63], v[54:55]
	v_add_f64 v[50:51], v[60:61], -v[64:65]
	v_add_f64 v[54:55], v[56:57], v[68:69]
	v_add_f64 v[60:61], v[66:67], v[124:125]
	;; [unrolled: 1-line block ×5, first 2 shown]
	v_add_f64 v[52:53], v[70:71], -v[52:53]
	v_add_f64 v[56:57], v[58:59], -v[76:77]
	v_add_f64 v[62:63], v[102:103], v[126:127]
	v_add_f64 v[70:71], v[106:107], v[122:123]
	;; [unrolled: 1-line block ×4, first 2 shown]
	v_add_f64 v[38:39], v[72:73], -v[74:75]
	v_add_f64 v[58:59], v[74:75], v[72:73]
	v_add_f64 v[64:65], v[66:67], -v[124:125]
	v_add_f64 v[66:67], v[102:103], -v[126:127]
	;; [unrolled: 1-line block ×3, first 2 shown]
	v_add_f64 v[78:79], v[110:111], v[114:115]
	v_add_f64 v[102:103], v[70:71], v[62:63]
	v_add_f64 v[104:105], v[68:69], -v[60:61]
	v_add_f64 v[60:61], v[60:61], -v[76:77]
	;; [unrolled: 1-line block ×3, first 2 shown]
	v_add_f64 v[76:77], v[76:77], v[100:101]
	v_add_f64 v[74:75], v[106:107], -v[122:123]
	v_add_f64 v[80:81], v[112:113], -v[108:109]
	;; [unrolled: 1-line block ×6, first 2 shown]
	v_add_f64 v[78:79], v[78:79], v[102:103]
	v_add_f64 v[28:29], v[28:29], v[76:77]
	;; [unrolled: 1-line block ×4, first 2 shown]
	v_add_f64 v[112:113], v[80:81], -v[72:73]
	v_add_f64 v[114:115], v[82:83], -v[74:75]
	;; [unrolled: 1-line block ×4, first 2 shown]
	v_add_f64 v[30:31], v[30:31], v[78:79]
	v_mov_b64_e32 v[120:121], v[28:29]
	v_add_f64 v[80:81], v[64:65], -v[80:81]
	v_add_f64 v[82:83], v[66:67], -v[82:83]
	v_add_f64 v[64:65], v[108:109], v[64:65]
	v_add_f64 v[66:67], v[110:111], v[66:67]
	v_mul_f64 v[60:61], v[60:61], s[10:11]
	v_mul_f64 v[62:63], v[62:63], s[10:11]
	;; [unrolled: 1-line block ×8, first 2 shown]
	v_fmac_f64_e32 v[120:121], s[14:15], v[76:77]
	v_mov_b64_e32 v[76:77], v[30:31]
	v_fmac_f64_e32 v[76:77], s[14:15], v[78:79]
	v_fma_f64 v[78:79], v[104:105], s[8:9], -v[100:101]
	v_fma_f64 v[100:101], v[106:107], s[8:9], -v[102:103]
	;; [unrolled: 1-line block ×3, first 2 shown]
	v_fmac_f64_e32 v[60:61], s[12:13], v[68:69]
	v_fma_f64 v[68:69], v[106:107], s[20:21], -v[62:63]
	v_fmac_f64_e32 v[62:63], s[12:13], v[70:71]
	v_fma_f64 v[104:105], v[72:73], s[6:7], -v[108:109]
	;; [unrolled: 2-line block ×4, first 2 shown]
	v_fma_f64 v[82:83], v[82:83], s[22:23], -v[114:115]
	ds_write_b128 v92, v[32:35]
	ds_write_b128 v92, v[36:39] offset:1088
	ds_write_b128 v92, v[40:43] offset:2176
	;; [unrolled: 1-line block ×6, first 2 shown]
	v_mul_u32_u24_e32 v32, 0x1dc0, v99
	v_lshlrev_b32_sdwa v33, v89, v91 dst_sel:DWORD dst_unused:UNUSED_PAD src0_sel:DWORD src1_sel:BYTE_0
	v_add_f64 v[106:107], v[60:61], v[120:121]
	v_add_f64 v[112:113], v[62:63], v[76:77]
	;; [unrolled: 1-line block ×6, first 2 shown]
	v_fmac_f64_e32 v[108:109], s[18:19], v[64:65]
	v_fmac_f64_e32 v[110:111], s[18:19], v[66:67]
	;; [unrolled: 1-line block ×6, first 2 shown]
	v_add3_u32 v32, 0, v32, v33
	v_add_f64 v[60:61], v[110:111], v[106:107]
	v_add_f64 v[62:63], v[112:113], -v[108:109]
	v_add_f64 v[64:65], v[82:83], v[100:101]
	v_add_f64 v[66:67], v[102:103], -v[80:81]
	v_add_f64 v[68:69], v[74:75], -v[72:73]
	v_add_f64 v[70:71], v[104:105], v[78:79]
	v_add_f64 v[72:73], v[72:73], v[74:75]
	v_add_f64 v[74:75], v[78:79], -v[104:105]
	v_add_f64 v[76:77], v[100:101], -v[82:83]
	v_add_f64 v[78:79], v[80:81], v[102:103]
	v_add_f64 v[80:81], v[106:107], -v[110:111]
	v_add_f64 v[82:83], v[108:109], v[112:113]
	ds_write_b128 v32, v[28:31]
	ds_write_b128 v32, v[60:63] offset:1088
	ds_write_b128 v32, v[64:67] offset:2176
	;; [unrolled: 1-line block ×6, first 2 shown]
	s_and_saveexec_b64 s[2:3], vcc
	s_cbranch_execz .LBB0_17
; %bb.16:
	v_lshrrev_b32_e32 v28, 22, v87
	v_mul_lo_u16_e32 v28, 0x44, v28
	v_sub_u16_e32 v64, v85, v28
	v_mul_u32_u24_e32 v28, 6, v64
	v_lshlrev_b32_e32 v52, 4, v28
	global_load_dwordx4 v[28:31], v52, s[4:5] offset:864
	global_load_dwordx4 v[32:35], v52, s[4:5] offset:848
	;; [unrolled: 1-line block ×6, first 2 shown]
	s_waitcnt vmcnt(5)
	v_mul_f64 v[52:53], v[18:19], v[30:31]
	s_waitcnt vmcnt(4)
	v_mul_f64 v[54:55], v[14:15], v[34:35]
	s_waitcnt vmcnt(3)
	v_mul_f64 v[56:57], v[2:3], v[38:39]
	s_waitcnt vmcnt(2)
	v_mul_f64 v[58:59], v[22:23], v[42:43]
	s_waitcnt vmcnt(1)
	v_mul_f64 v[60:61], v[10:11], v[46:47]
	s_waitcnt vmcnt(0)
	v_mul_f64 v[62:63], v[26:27], v[50:51]
	v_mul_f64 v[34:35], v[12:13], v[34:35]
	v_mul_f64 v[38:39], v[0:1], v[38:39]
	;; [unrolled: 1-line block ×6, first 2 shown]
	v_fmac_f64_e32 v[54:55], v[12:13], v[32:33]
	v_fmac_f64_e32 v[56:57], v[0:1], v[36:37]
	;; [unrolled: 1-line block ×5, first 2 shown]
	v_fma_f64 v[0:1], v[14:15], v[32:33], -v[34:35]
	v_fma_f64 v[2:3], v[2:3], v[36:37], -v[38:39]
	;; [unrolled: 1-line block ×5, first 2 shown]
	v_fmac_f64_e32 v[52:53], v[16:17], v[28:29]
	v_fma_f64 v[8:9], v[18:19], v[28:29], -v[30:31]
	v_add_f64 v[24:25], v[2:3], v[12:13]
	v_add_f64 v[26:27], v[10:11], v[14:15]
	;; [unrolled: 1-line block ×4, first 2 shown]
	v_add_f64 v[16:17], v[52:53], -v[54:55]
	v_add_f64 v[18:19], v[56:57], -v[58:59]
	;; [unrolled: 1-line block ×3, first 2 shown]
	v_add_f64 v[22:23], v[0:1], v[8:9]
	v_add_f64 v[28:29], v[54:55], v[52:53]
	v_add_f64 v[0:1], v[8:9], -v[0:1]
	v_add_f64 v[8:9], v[2:3], -v[12:13]
	v_add_f64 v[36:37], v[24:25], v[26:27]
	v_add_f64 v[42:43], v[30:31], v[32:33]
	v_add_f64 v[12:13], v[10:11], -v[14:15]
	v_add_f64 v[2:3], v[16:17], v[18:19]
	v_add_f64 v[10:11], v[16:17], -v[18:19]
	v_add_f64 v[14:15], v[20:21], -v[16:17]
	;; [unrolled: 1-line block ×6, first 2 shown]
	v_add_f64 v[44:45], v[0:1], v[8:9]
	v_add_f64 v[18:19], v[18:19], -v[20:21]
	v_add_f64 v[22:23], v[22:23], v[36:37]
	v_add_f64 v[28:29], v[28:29], v[42:43]
	v_add_f64 v[46:47], v[0:1], -v[8:9]
	v_add_f64 v[48:49], v[12:13], -v[0:1]
	;; [unrolled: 1-line block ×4, first 2 shown]
	v_add_f64 v[20:21], v[2:3], v[20:21]
	v_mul_f64 v[30:31], v[10:11], s[16:17]
	v_mul_f64 v[36:37], v[40:41], s[10:11]
	v_add_f64 v[40:41], v[44:45], v[12:13]
	v_mul_f64 v[44:45], v[18:19], s[6:7]
	v_add_f64 v[2:3], v[6:7], v[22:23]
	v_add_f64 v[0:1], v[4:5], v[28:29]
	v_mul_f64 v[10:11], v[34:35], s[10:11]
	v_mul_f64 v[42:43], v[46:47], s[16:17]
	v_fma_f64 v[46:47], s[24:25], v[14:15], v[30:31]
	v_fma_f64 v[6:7], s[12:13], v[38:39], v[36:37]
	v_fma_f64 v[44:45], v[14:15], s[22:23], -v[44:45]
	v_fma_f64 v[14:15], v[26:27], s[20:21], -v[36:37]
	v_mov_b64_e32 v[36:37], v[2:3]
	v_mov_b64_e32 v[50:51], v[0:1]
	v_add_f64 v[12:13], v[8:9], -v[12:13]
	v_mul_f64 v[32:33], v[16:17], s[12:13]
	v_mul_f64 v[34:35], v[38:39], s[12:13]
	v_fma_f64 v[16:17], s[12:13], v[16:17], v[10:11]
	v_fmac_f64_e32 v[36:37], s[14:15], v[22:23]
	v_fmac_f64_e32 v[50:51], s[14:15], v[28:29]
	v_mul_f64 v[8:9], v[12:13], s[6:7]
	v_fma_f64 v[18:19], v[18:19], s[6:7], -v[30:31]
	v_fma_f64 v[38:39], s[24:25], v[48:49], v[42:43]
	v_fma_f64 v[4:5], v[24:25], s[20:21], -v[10:11]
	v_fmac_f64_e32 v[46:47], s[18:19], v[20:21]
	v_fmac_f64_e32 v[44:45], s[18:19], v[20:21]
	v_add_f64 v[28:29], v[16:17], v[36:37]
	v_add_f64 v[54:55], v[14:15], v[50:51]
	v_fma_f64 v[48:49], v[48:49], s[22:23], -v[8:9]
	v_fma_f64 v[14:15], v[24:25], s[8:9], -v[32:33]
	v_fmac_f64_e32 v[18:19], s[18:19], v[20:21]
	v_fma_f64 v[20:21], v[12:13], s[6:7], -v[42:43]
	v_fma_f64 v[12:13], v[26:27], s[8:9], -v[34:35]
	v_fmac_f64_e32 v[38:39], s[18:19], v[40:41]
	v_add_f64 v[52:53], v[6:7], v[50:51]
	v_add_f64 v[22:23], v[4:5], v[36:37]
	;; [unrolled: 1-line block ×3, first 2 shown]
	v_fmac_f64_e32 v[48:49], s[18:19], v[40:41]
	v_add_f64 v[16:17], v[14:15], v[36:37]
	v_fmac_f64_e32 v[20:21], s[18:19], v[40:41]
	v_add_f64 v[24:25], v[12:13], v[50:51]
	v_add_f64 v[26:27], v[28:29], -v[46:47]
	v_lshl_add_u32 v28, v64, 4, 0
	v_add_f64 v[4:5], v[52:53], -v[38:39]
	v_add_f64 v[10:11], v[44:45], v[22:23]
	v_add_f64 v[8:9], v[54:55], -v[48:49]
	v_add_f64 v[14:15], v[16:17], -v[18:19]
	v_add_f64 v[12:13], v[20:21], v[24:25]
	v_add_f64 v[18:19], v[18:19], v[16:17]
	v_add_f64 v[16:17], v[24:25], -v[20:21]
	v_add_f64 v[22:23], v[22:23], -v[44:45]
	v_add_f64 v[20:21], v[48:49], v[54:55]
	v_add_f64 v[24:25], v[38:39], v[52:53]
	ds_write_b128 v28, v[0:3] offset:22848
	ds_write_b128 v28, v[24:27] offset:23936
	;; [unrolled: 1-line block ×7, first 2 shown]
.LBB0_17:
	s_or_b64 exec, exec, s[2:3]
	v_mul_u32_u24_e32 v0, 3, v118
	v_lshlrev_b32_e32 v92, 4, v0
	v_lshl_add_u64 v[28:29], s[4:5], 0, v[92:93]
	s_movk_i32 s8, 0x1000
	s_mov_b64 s[2:3], 0x1cb0
	v_add_co_u32_e32 v14, vcc, s8, v28
	v_lshl_add_u64 v[12:13], v[28:29], 0, s[2:3]
	s_nop 0
	v_addc_co_u32_e32 v15, vcc, 0, v29, vcc
	s_movk_i32 s9, 0x3000
	s_waitcnt lgkmcnt(0)
	s_barrier
	global_load_dwordx4 v[0:3], v[14:15], off offset:3248
	global_load_dwordx4 v[4:7], v[12:13], off offset:32
	;; [unrolled: 1-line block ×3, first 2 shown]
	s_mov_b64 s[6:7], 0x3300
	v_add_co_u32_e32 v12, vcc, s9, v28
	v_lshl_add_u64 v[24:25], v[28:29], 0, s[6:7]
	s_nop 0
	v_addc_co_u32_e32 v13, vcc, 0, v29, vcc
	s_movk_i32 s6, 0x4000
	global_load_dwordx4 v[12:15], v[12:13], off offset:768
	s_nop 0
	global_load_dwordx4 v[16:19], v[24:25], off offset:16
	global_load_dwordx4 v[20:23], v[24:25], off offset:32
	v_add_co_u32_e32 v24, vcc, s6, v28
	s_mov_b64 s[6:7], 0x4950
	s_nop 0
	v_addc_co_u32_e32 v25, vcc, 0, v29, vcc
	v_lshl_add_u64 v[36:37], v[28:29], 0, s[6:7]
	global_load_dwordx4 v[24:27], v[24:25], off offset:2384
	s_nop 0
	global_load_dwordx4 v[28:31], v[36:37], off offset:32
	global_load_dwordx4 v[32:35], v[36:37], off offset:16
	v_mul_u32_u24_e32 v36, 3, v84
	v_lshlrev_b32_e32 v92, 4, v36
	v_lshl_add_u64 v[40:41], s[4:5], 0, v[92:93]
	v_add_co_u32_e32 v36, vcc, s8, v40
	v_lshl_add_u64 v[48:49], v[40:41], 0, s[2:3]
	s_nop 0
	v_addc_co_u32_e32 v37, vcc, 0, v41, vcc
	global_load_dwordx4 v[36:39], v[36:37], off offset:3248
	s_nop 0
	global_load_dwordx4 v[40:43], v[48:49], off offset:16
	global_load_dwordx4 v[44:47], v[48:49], off offset:32
	ds_read_b128 v[48:51], v216
	ds_read_b128 v[52:55], v216 offset:1904
	ds_read_b128 v[56:59], v216 offset:15232
	;; [unrolled: 1-line block ×7, first 2 shown]
	ds_read_b128 v[80:83], v96
	ds_read_b128 v[98:101], v97
	ds_read_b128 v[102:105], v216 offset:11424
	ds_read_b128 v[106:109], v216 offset:13328
	;; [unrolled: 1-line block ×6, first 2 shown]
	s_waitcnt lgkmcnt(0)
	s_barrier
	s_add_u32 s2, s4, 0x75f0
	s_addc_u32 s3, s5, 0
	v_cmp_ne_u32_e32 vcc, 0, v118
	s_waitcnt vmcnt(11)
	v_mul_f64 v[92:93], v[82:83], v[2:3]
	s_waitcnt vmcnt(10)
	v_mul_f64 v[132:133], v[66:67], v[6:7]
	v_mul_f64 v[6:7], v[64:65], v[6:7]
	v_fmac_f64_e32 v[132:133], v[64:65], v[4:5]
	v_fma_f64 v[4:5], v[66:67], v[4:5], -v[6:7]
	v_mul_f64 v[2:3], v[80:81], v[2:3]
	s_waitcnt vmcnt(9)
	v_mul_f64 v[114:115], v[58:59], v[10:11]
	v_mul_f64 v[10:11], v[56:57], v[10:11]
	v_fmac_f64_e32 v[92:93], v[80:81], v[0:1]
	v_fma_f64 v[0:1], v[82:83], v[0:1], -v[2:3]
	s_waitcnt vmcnt(7)
	v_mul_f64 v[136:137], v[62:63], v[18:19]
	v_mul_f64 v[18:19], v[60:61], v[18:19]
	v_fmac_f64_e32 v[136:137], v[60:61], v[16:17]
	v_fma_f64 v[16:17], v[62:63], v[16:17], -v[18:19]
	;; [unrolled: 5-line block ×3, first 2 shown]
	s_waitcnt vmcnt(5)
	v_mul_f64 v[6:7], v[102:103], v[26:27]
	v_fma_f64 v[60:61], v[104:105], v[24:25], -v[6:7]
	s_waitcnt vmcnt(3)
	v_mul_f64 v[62:63], v[112:113], v[34:35]
	v_mul_f64 v[6:7], v[110:111], v[34:35]
	v_fmac_f64_e32 v[62:63], v[110:111], v[32:33]
	v_fma_f64 v[32:33], v[112:113], v[32:33], -v[6:7]
	v_mul_f64 v[6:7], v[124:125], v[30:31]
	v_fma_f64 v[64:65], v[126:127], v[28:29], -v[6:7]
	v_mul_f64 v[134:135], v[74:75], v[14:15]
	v_mul_f64 v[14:15], v[72:73], v[14:15]
	s_waitcnt vmcnt(2)
	v_mul_f64 v[6:7], v[106:107], v[38:39]
	v_fmac_f64_e32 v[114:115], v[56:57], v[8:9]
	v_fma_f64 v[2:3], v[58:59], v[8:9], -v[10:11]
	v_fma_f64 v[68:69], v[108:109], v[36:37], -v[6:7]
	s_waitcnt vmcnt(1)
	v_mul_f64 v[6:7], v[120:121], v[42:43]
	v_fmac_f64_e32 v[134:135], v[72:73], v[12:13]
	v_fma_f64 v[56:57], v[74:75], v[12:13], -v[14:15]
	v_fma_f64 v[72:73], v[122:123], v[40:41], -v[6:7]
	s_waitcnt vmcnt(0)
	v_mul_f64 v[6:7], v[128:129], v[46:47]
	v_add_f64 v[12:13], v[48:49], -v[114:115]
	v_add_f64 v[14:15], v[50:51], -v[2:3]
	;; [unrolled: 1-line block ×4, first 2 shown]
	v_mul_f64 v[58:59], v[104:105], v[26:27]
	v_mul_f64 v[34:35], v[126:127], v[30:31]
	;; [unrolled: 1-line block ×3, first 2 shown]
	v_fma_f64 v[80:81], v[130:131], v[44:45], -v[6:7]
	v_fma_f64 v[6:7], v[48:49], 2.0, -v[12:13]
	v_fma_f64 v[8:9], v[50:51], 2.0, -v[14:15]
	;; [unrolled: 1-line block ×4, first 2 shown]
	v_fmac_f64_e32 v[58:59], v[102:103], v[24:25]
	v_fmac_f64_e32 v[34:35], v[124:125], v[28:29]
	;; [unrolled: 1-line block ×3, first 2 shown]
	v_mul_f64 v[70:71], v[122:123], v[42:43]
	v_mul_f64 v[74:75], v[130:131], v[46:47]
	v_add_f64 v[0:1], v[6:7], -v[2:3]
	v_add_f64 v[2:3], v[8:9], -v[4:5]
	;; [unrolled: 1-line block ×6, first 2 shown]
	v_fmac_f64_e32 v[70:71], v[120:121], v[40:41]
	v_fmac_f64_e32 v[74:75], v[128:129], v[44:45]
	v_fma_f64 v[4:5], v[6:7], 2.0, -v[0:1]
	v_fma_f64 v[6:7], v[8:9], 2.0, -v[2:3]
	v_add_f64 v[8:9], v[12:13], v[22:23]
	v_fma_f64 v[22:23], v[52:53], 2.0, -v[28:29]
	v_fma_f64 v[24:25], v[54:55], 2.0, -v[30:31]
	;; [unrolled: 1-line block ×4, first 2 shown]
	v_add_f64 v[42:43], v[58:59], -v[34:35]
	v_add_f64 v[40:41], v[60:61], -v[64:65]
	;; [unrolled: 1-line block ×6, first 2 shown]
	v_fma_f64 v[32:33], v[58:59], 2.0, -v[42:43]
	v_fma_f64 v[34:35], v[60:61], 2.0, -v[40:41]
	v_add_f64 v[60:61], v[98:99], -v[70:71]
	v_add_f64 v[62:63], v[100:101], -v[72:73]
	v_add_f64 v[58:59], v[66:67], -v[74:75]
	v_add_f64 v[56:57], v[68:69], -v[80:81]
	v_fma_f64 v[20:21], v[22:23], 2.0, -v[16:17]
	v_fma_f64 v[22:23], v[24:25], 2.0, -v[18:19]
	v_add_f64 v[24:25], v[28:29], v[36:37]
	v_fma_f64 v[36:37], v[76:77], 2.0, -v[44:45]
	v_fma_f64 v[38:39], v[78:79], 2.0, -v[46:47]
	;; [unrolled: 1-line block ×6, first 2 shown]
	v_add_f64 v[10:11], v[14:15], -v[10:11]
	v_add_f64 v[26:27], v[30:31], -v[26:27]
	;; [unrolled: 1-line block ×4, first 2 shown]
	v_add_f64 v[40:41], v[44:45], v[40:41]
	v_add_f64 v[42:43], v[46:47], -v[42:43]
	v_add_f64 v[48:49], v[52:53], -v[48:49]
	;; [unrolled: 1-line block ×3, first 2 shown]
	v_add_f64 v[56:57], v[60:61], v[56:57]
	v_add_f64 v[58:59], v[62:63], -v[58:59]
	v_fma_f64 v[12:13], v[12:13], 2.0, -v[8:9]
	v_fma_f64 v[14:15], v[14:15], 2.0, -v[10:11]
	;; [unrolled: 1-line block ×12, first 2 shown]
	ds_write_b128 v216, v[4:7]
	ds_write_b128 v216, v[12:15] offset:7616
	ds_write_b128 v216, v[0:3] offset:15232
	;; [unrolled: 1-line block ×11, first 2 shown]
	ds_write_b128 v97, v[52:55]
	ds_write_b128 v97, v[60:63] offset:7616
	ds_write_b128 v97, v[48:51] offset:15232
	;; [unrolled: 1-line block ×3, first 2 shown]
	s_waitcnt lgkmcnt(0)
	s_barrier
	ds_read_b128 v[0:3], v216
	v_lshlrev_b32_e32 v4, 4, v118
	v_sub_u32_e32 v16, 0, v4
                                        ; implicit-def: $vgpr4_vgpr5
                                        ; implicit-def: $vgpr12_vgpr13
                                        ; implicit-def: $vgpr14_vgpr15
                                        ; implicit-def: $vgpr8_vgpr9
	s_and_saveexec_b64 s[4:5], vcc
	s_xor_b64 s[4:5], exec, s[4:5]
	s_cbranch_execz .LBB0_19
; %bb.18:
	v_mov_b32_e32 v119, 0
	v_lshl_add_u64 v[4:5], v[118:119], 4, s[2:3]
	global_load_dwordx4 v[4:7], v[4:5], off
	ds_read_b128 v[8:11], v16 offset:30464
	s_waitcnt lgkmcnt(0)
	v_add_f64 v[18:19], v[0:1], v[8:9]
	v_add_f64 v[0:1], v[0:1], -v[8:9]
	v_add_f64 v[12:13], v[2:3], v[10:11]
	v_add_f64 v[2:3], v[2:3], -v[10:11]
	v_mul_f64 v[0:1], v[0:1], 0.5
	v_mul_f64 v[8:9], v[12:13], 0.5
	;; [unrolled: 1-line block ×3, first 2 shown]
	s_waitcnt vmcnt(0)
	v_mul_f64 v[10:11], v[0:1], v[6:7]
	v_fma_f64 v[14:15], v[8:9], v[6:7], v[2:3]
	v_fma_f64 v[2:3], v[8:9], v[6:7], -v[2:3]
	v_fma_f64 v[12:13], 0.5, v[18:19], v[10:11]
	v_fma_f64 v[10:11], v[18:19], 0.5, -v[10:11]
	v_fma_f64 v[14:15], -v[4:5], v[0:1], v[14:15]
	v_fma_f64 v[6:7], -v[4:5], v[0:1], v[2:3]
	v_fmac_f64_e32 v[12:13], v[8:9], v[4:5]
	v_fma_f64 v[4:5], -v[8:9], v[4:5], v[10:11]
	v_mov_b64_e32 v[8:9], v[118:119]
                                        ; implicit-def: $vgpr0_vgpr1
.LBB0_19:
	s_andn2_saveexec_b64 s[4:5], s[4:5]
	s_cbranch_execz .LBB0_21
; %bb.20:
	v_mov_b32_e32 v10, 0
	ds_read_b64 v[6:7], v10 offset:15240
	v_mov_b64_e32 v[14:15], 0
	s_waitcnt lgkmcnt(1)
	v_add_f64 v[12:13], v[0:1], v[2:3]
	v_add_f64 v[4:5], v[0:1], -v[2:3]
	v_mov_b64_e32 v[8:9], 0
	s_waitcnt lgkmcnt(0)
	v_xor_b32_e32 v7, 0x80000000, v7
	ds_write_b64 v10, v[6:7] offset:15240
	v_mov_b64_e32 v[6:7], v[14:15]
.LBB0_21:
	s_or_b64 exec, exec, s[4:5]
	v_lshl_add_u64 v[10:11], v[8:9], 4, s[2:3]
	global_load_dwordx4 v[18:21], v[10:11], off offset:1904
	global_load_dwordx4 v[22:25], v[10:11], off offset:3808
	v_mov_b32_e32 v85, 0
	s_waitcnt lgkmcnt(0)
	v_lshl_add_u64 v[0:1], v[84:85], 4, s[2:3]
	global_load_dwordx4 v[0:3], v[0:1], off
	v_mov_b32_e32 v89, v85
	ds_write2_b64 v216, v[12:13], v[14:15] offset1:1
	ds_write_b128 v16, v[4:7] offset:30464
	v_lshl_add_u64 v[26:27], v[88:89], 4, s[2:3]
	ds_read_b128 v[4:7], v216 offset:1904
	ds_read_b128 v[12:15], v16 offset:28560
	global_load_dwordx4 v[26:29], v[26:27], off
	v_mov_b32_e32 v91, v85
	v_add_u32_e32 v17, 0x800, v216
	v_mov_b32_e32 v87, v85
	s_waitcnt lgkmcnt(0)
	v_add_f64 v[30:31], v[4:5], v[12:13]
	v_add_f64 v[4:5], v[4:5], -v[12:13]
	v_add_f64 v[32:33], v[6:7], v[14:15]
	v_add_f64 v[6:7], v[6:7], -v[14:15]
	v_mul_f64 v[4:5], v[4:5], 0.5
	v_mul_f64 v[12:13], v[32:33], 0.5
	;; [unrolled: 1-line block ×3, first 2 shown]
	s_movk_i32 s4, 0x3000
	v_add_co_u32_e32 v10, vcc, s4, v10
	s_waitcnt vmcnt(3)
	v_mul_f64 v[14:15], v[4:5], v[20:21]
	v_fma_f64 v[32:33], v[12:13], v[20:21], v[6:7]
	v_fma_f64 v[6:7], v[12:13], v[20:21], -v[6:7]
	v_fma_f64 v[20:21], 0.5, v[30:31], v[14:15]
	v_fma_f64 v[32:33], -v[18:19], v[4:5], v[32:33]
	v_fma_f64 v[14:15], v[30:31], 0.5, -v[14:15]
	v_fmac_f64_e32 v[20:21], v[12:13], v[18:19]
	v_fma_f64 v[6:7], -v[18:19], v[4:5], v[6:7]
	v_fma_f64 v[4:5], -v[12:13], v[18:19], v[14:15]
	ds_write2_b64 v216, v[20:21], v[32:33] offset0:238 offset1:239
	ds_write_b128 v16, v[4:7] offset:28560
	v_lshl_add_u64 v[18:19], v[90:91], 4, s[2:3]
	ds_read_b128 v[4:7], v216 offset:3808
	ds_read_b128 v[12:15], v16 offset:26656
	global_load_dwordx4 v[18:21], v[18:19], off
	v_addc_co_u32_e32 v11, vcc, 0, v11, vcc
	s_waitcnt lgkmcnt(0)
	v_add_f64 v[30:31], v[4:5], v[12:13]
	v_add_f64 v[4:5], v[4:5], -v[12:13]
	v_add_f64 v[32:33], v[6:7], v[14:15]
	v_add_f64 v[6:7], v[6:7], -v[14:15]
	v_mul_f64 v[4:5], v[4:5], 0.5
	v_mul_f64 v[12:13], v[32:33], 0.5
	;; [unrolled: 1-line block ×3, first 2 shown]
	s_waitcnt vmcnt(3)
	v_mul_f64 v[14:15], v[4:5], v[24:25]
	v_fma_f64 v[32:33], v[12:13], v[24:25], v[6:7]
	v_fma_f64 v[6:7], v[12:13], v[24:25], -v[6:7]
	v_fma_f64 v[24:25], 0.5, v[30:31], v[14:15]
	v_fma_f64 v[32:33], -v[22:23], v[4:5], v[32:33]
	v_fma_f64 v[14:15], v[30:31], 0.5, -v[14:15]
	v_fmac_f64_e32 v[24:25], v[12:13], v[22:23]
	v_fma_f64 v[6:7], -v[22:23], v[4:5], v[6:7]
	v_fma_f64 v[4:5], -v[12:13], v[22:23], v[14:15]
	ds_write2_b64 v17, v[24:25], v[32:33] offset0:220 offset1:221
	ds_write_b128 v16, v[4:7] offset:26656
	v_lshl_add_u64 v[22:23], v[86:87], 4, s[2:3]
	ds_read_b128 v[4:7], v97
	ds_read_b128 v[12:15], v16 offset:24752
	global_load_dwordx4 v[22:25], v[22:23], off
	s_waitcnt lgkmcnt(0)
	v_add_f64 v[30:31], v[4:5], v[12:13]
	v_add_f64 v[4:5], v[4:5], -v[12:13]
	v_add_f64 v[32:33], v[6:7], v[14:15]
	v_add_f64 v[6:7], v[6:7], -v[14:15]
	v_mul_f64 v[4:5], v[4:5], 0.5
	v_mul_f64 v[12:13], v[32:33], 0.5
	;; [unrolled: 1-line block ×3, first 2 shown]
	s_waitcnt vmcnt(3)
	v_mul_f64 v[14:15], v[4:5], v[2:3]
	v_fma_f64 v[32:33], v[12:13], v[2:3], v[6:7]
	v_fma_f64 v[2:3], v[12:13], v[2:3], -v[6:7]
	v_fma_f64 v[6:7], 0.5, v[30:31], v[14:15]
	v_fma_f64 v[32:33], -v[0:1], v[4:5], v[32:33]
	v_fma_f64 v[14:15], v[30:31], 0.5, -v[14:15]
	v_fmac_f64_e32 v[6:7], v[12:13], v[0:1]
	v_fma_f64 v[2:3], -v[0:1], v[4:5], v[2:3]
	v_fma_f64 v[0:1], -v[12:13], v[0:1], v[14:15]
	ds_write2_b64 v97, v[6:7], v[32:33] offset1:1
	ds_write_b128 v16, v[0:3] offset:24752
	ds_read_b128 v[0:3], v96
	ds_read_b128 v[4:7], v16 offset:22848
	global_load_dwordx4 v[10:13], v[10:11], off offset:1040
	s_waitcnt lgkmcnt(0)
	v_add_f64 v[14:15], v[0:1], v[4:5]
	v_add_f64 v[0:1], v[0:1], -v[4:5]
	v_add_f64 v[30:31], v[2:3], v[6:7]
	v_add_f64 v[2:3], v[2:3], -v[6:7]
	v_mul_f64 v[0:1], v[0:1], 0.5
	v_mul_f64 v[4:5], v[30:31], 0.5
	v_mul_f64 v[2:3], v[2:3], 0.5
	s_waitcnt vmcnt(3)
	v_mul_f64 v[6:7], v[0:1], v[28:29]
	v_fma_f64 v[30:31], v[4:5], v[28:29], v[2:3]
	v_fma_f64 v[2:3], v[4:5], v[28:29], -v[2:3]
	v_fma_f64 v[28:29], 0.5, v[14:15], v[6:7]
	v_fma_f64 v[30:31], -v[26:27], v[0:1], v[30:31]
	v_fma_f64 v[6:7], v[14:15], 0.5, -v[6:7]
	v_fmac_f64_e32 v[28:29], v[4:5], v[26:27]
	v_fma_f64 v[2:3], -v[26:27], v[0:1], v[2:3]
	v_fma_f64 v[0:1], -v[4:5], v[26:27], v[6:7]
	ds_write2_b64 v96, v[28:29], v[30:31] offset1:1
	ds_write_b128 v16, v[0:3] offset:22848
	ds_read_b128 v[0:3], v95
	ds_read_b128 v[4:7], v16 offset:20944
	s_waitcnt lgkmcnt(0)
	v_add_f64 v[14:15], v[0:1], v[4:5]
	v_add_f64 v[0:1], v[0:1], -v[4:5]
	v_add_f64 v[26:27], v[2:3], v[6:7]
	v_add_f64 v[2:3], v[2:3], -v[6:7]
	v_mul_f64 v[0:1], v[0:1], 0.5
	v_mul_f64 v[4:5], v[26:27], 0.5
	;; [unrolled: 1-line block ×3, first 2 shown]
	s_waitcnt vmcnt(2)
	v_mul_f64 v[6:7], v[0:1], v[20:21]
	v_fma_f64 v[26:27], v[4:5], v[20:21], v[2:3]
	v_fma_f64 v[2:3], v[4:5], v[20:21], -v[2:3]
	v_fma_f64 v[20:21], 0.5, v[14:15], v[6:7]
	v_fma_f64 v[26:27], -v[18:19], v[0:1], v[26:27]
	v_fma_f64 v[6:7], v[14:15], 0.5, -v[6:7]
	v_fmac_f64_e32 v[20:21], v[4:5], v[18:19]
	v_fma_f64 v[2:3], -v[18:19], v[0:1], v[2:3]
	v_fma_f64 v[0:1], -v[4:5], v[18:19], v[6:7]
	ds_write2_b64 v95, v[20:21], v[26:27] offset1:1
	ds_write_b128 v16, v[0:3] offset:20944
	ds_read_b128 v[0:3], v94
	ds_read_b128 v[4:7], v16 offset:19040
	s_waitcnt lgkmcnt(0)
	v_add_f64 v[14:15], v[0:1], v[4:5]
	v_add_f64 v[0:1], v[0:1], -v[4:5]
	v_add_f64 v[18:19], v[2:3], v[6:7]
	v_add_f64 v[2:3], v[2:3], -v[6:7]
	v_mul_f64 v[6:7], v[0:1], 0.5
	v_mul_f64 v[4:5], v[18:19], 0.5
	;; [unrolled: 1-line block ×3, first 2 shown]
	s_waitcnt vmcnt(1)
	v_mul_f64 v[0:1], v[6:7], v[24:25]
	v_fma_f64 v[18:19], v[4:5], v[24:25], v[2:3]
	v_fma_f64 v[20:21], 0.5, v[14:15], v[0:1]
	v_fma_f64 v[18:19], -v[22:23], v[6:7], v[18:19]
	v_fma_f64 v[0:1], v[14:15], 0.5, -v[0:1]
	v_fmac_f64_e32 v[20:21], v[4:5], v[22:23]
	v_fma_f64 v[2:3], v[4:5], v[24:25], -v[2:3]
	v_fma_f64 v[0:1], -v[4:5], v[22:23], v[0:1]
	v_fma_f64 v[2:3], -v[22:23], v[6:7], v[2:3]
	ds_write2_b64 v94, v[20:21], v[18:19] offset1:1
	ds_write_b128 v16, v[0:3] offset:19040
	ds_read_b128 v[0:3], v216 offset:13328
	ds_read_b128 v[4:7], v16 offset:17136
	s_waitcnt lgkmcnt(0)
	v_add_f64 v[14:15], v[0:1], v[4:5]
	v_add_f64 v[0:1], v[0:1], -v[4:5]
	v_add_f64 v[18:19], v[2:3], v[6:7]
	v_add_f64 v[2:3], v[2:3], -v[6:7]
	v_mul_f64 v[4:5], v[0:1], 0.5
	v_mul_f64 v[18:19], v[18:19], 0.5
	v_mul_f64 v[2:3], v[2:3], 0.5
	s_waitcnt vmcnt(0)
	v_mul_f64 v[0:1], v[4:5], v[12:13]
	v_fma_f64 v[6:7], 0.5, v[14:15], v[0:1]
	v_fma_f64 v[20:21], v[18:19], v[12:13], v[2:3]
	v_fma_f64 v[2:3], v[18:19], v[12:13], -v[2:3]
	v_fmac_f64_e32 v[6:7], v[18:19], v[10:11]
	v_fma_f64 v[20:21], -v[10:11], v[4:5], v[20:21]
	v_fma_f64 v[0:1], v[14:15], 0.5, -v[0:1]
	v_fma_f64 v[2:3], -v[10:11], v[4:5], v[2:3]
	v_add_u32_e32 v4, 0x3000, v216
	v_fma_f64 v[0:1], -v[18:19], v[10:11], v[0:1]
	ds_write2_b64 v4, v[6:7], v[20:21] offset0:130 offset1:131
	ds_write_b128 v16, v[0:3] offset:17136
	s_waitcnt lgkmcnt(0)
	s_barrier
	s_and_saveexec_b64 s[2:3], s[0:1]
	s_cbranch_execz .LBB0_24
; %bb.22:
	ds_read_b128 v[0:3], v216
	ds_read_b128 v[4:7], v216 offset:1904
	ds_read_b128 v[10:13], v216 offset:3808
	v_lshl_add_u64 v[14:15], v[8:9], 4, v[116:117]
	v_add_co_u32_e32 v8, vcc, 0x1000, v14
	s_waitcnt lgkmcnt(2)
	global_store_dwordx4 v[14:15], v[0:3], off
	s_waitcnt lgkmcnt(1)
	global_store_dwordx4 v[14:15], v[4:7], off offset:1904
	ds_read_b128 v[0:3], v216 offset:5712
	ds_read_b128 v[4:7], v216 offset:7616
	v_addc_co_u32_e32 v9, vcc, 0, v15, vcc
	s_waitcnt lgkmcnt(2)
	global_store_dwordx4 v[14:15], v[10:13], off offset:3808
	s_waitcnt lgkmcnt(1)
	global_store_dwordx4 v[8:9], v[0:3], off offset:1616
	ds_read_b128 v[0:3], v216 offset:9520
	s_waitcnt lgkmcnt(1)
	global_store_dwordx4 v[8:9], v[4:7], off offset:3520
	ds_read_b128 v[4:7], v216 offset:11424
	v_add_co_u32_e32 v8, vcc, 0x2000, v14
	s_movk_i32 s0, 0x76
	s_nop 0
	v_addc_co_u32_e32 v9, vcc, 0, v15, vcc
	s_waitcnt lgkmcnt(1)
	global_store_dwordx4 v[8:9], v[0:3], off offset:1328
	ds_read_b128 v[0:3], v216 offset:13328
	s_waitcnt lgkmcnt(1)
	global_store_dwordx4 v[8:9], v[4:7], off offset:3232
	ds_read_b128 v[4:7], v216 offset:15232
	v_add_co_u32_e32 v8, vcc, s4, v14
	s_nop 1
	v_addc_co_u32_e32 v9, vcc, 0, v15, vcc
	s_waitcnt lgkmcnt(1)
	global_store_dwordx4 v[8:9], v[0:3], off offset:1040
	ds_read_b128 v[0:3], v216 offset:17136
	s_waitcnt lgkmcnt(1)
	global_store_dwordx4 v[8:9], v[4:7], off offset:2944
	ds_read_b128 v[4:7], v216 offset:19040
	v_add_co_u32_e32 v8, vcc, 0x4000, v14
	;; [unrolled: 9-line block ×3, first 2 shown]
	s_nop 1
	v_addc_co_u32_e32 v9, vcc, 0, v15, vcc
	s_waitcnt lgkmcnt(1)
	global_store_dwordx4 v[8:9], v[0:3], off offset:464
	s_waitcnt lgkmcnt(0)
	global_store_dwordx4 v[8:9], v[4:7], off offset:2368
	ds_read_b128 v[0:3], v216 offset:24752
	ds_read_b128 v[4:7], v216 offset:26656
	;; [unrolled: 1-line block ×3, first 2 shown]
	v_add_co_u32_e32 v12, vcc, 0x6000, v14
	s_nop 1
	v_addc_co_u32_e32 v13, vcc, 0, v15, vcc
	v_cmp_eq_u32_e32 vcc, s0, v118
	s_waitcnt lgkmcnt(2)
	global_store_dwordx4 v[12:13], v[0:3], off offset:176
	s_waitcnt lgkmcnt(1)
	global_store_dwordx4 v[12:13], v[4:7], off offset:2080
	;; [unrolled: 2-line block ×3, first 2 shown]
	s_and_b64 exec, exec, vcc
	s_cbranch_execz .LBB0_24
; %bb.23:
	v_mov_b32_e32 v0, 0
	ds_read_b128 v[0:3], v0 offset:30464
	v_add_co_u32_e32 v4, vcc, 0x7000, v116
	s_nop 1
	v_addc_co_u32_e32 v5, vcc, 0, v117, vcc
	s_waitcnt lgkmcnt(0)
	global_store_dwordx4 v[4:5], v[0:3], off offset:1792
.LBB0_24:
	s_endpgm
	.section	.rodata,"a",@progbits
	.p2align	6, 0x0
	.amdhsa_kernel fft_rtc_back_len1904_factors_17_2_2_7_4_wgs_119_tpt_119_halfLds_dp_ip_CI_unitstride_sbrr_R2C_dirReg
		.amdhsa_group_segment_fixed_size 0
		.amdhsa_private_segment_fixed_size 0
		.amdhsa_kernarg_size 88
		.amdhsa_user_sgpr_count 2
		.amdhsa_user_sgpr_dispatch_ptr 0
		.amdhsa_user_sgpr_queue_ptr 0
		.amdhsa_user_sgpr_kernarg_segment_ptr 1
		.amdhsa_user_sgpr_dispatch_id 0
		.amdhsa_user_sgpr_kernarg_preload_length 0
		.amdhsa_user_sgpr_kernarg_preload_offset 0
		.amdhsa_user_sgpr_private_segment_size 0
		.amdhsa_uses_dynamic_stack 0
		.amdhsa_enable_private_segment 0
		.amdhsa_system_sgpr_workgroup_id_x 1
		.amdhsa_system_sgpr_workgroup_id_y 0
		.amdhsa_system_sgpr_workgroup_id_z 0
		.amdhsa_system_sgpr_workgroup_info 0
		.amdhsa_system_vgpr_workitem_id 0
		.amdhsa_next_free_vgpr 256
		.amdhsa_next_free_sgpr 54
		.amdhsa_accum_offset 256
		.amdhsa_reserve_vcc 1
		.amdhsa_float_round_mode_32 0
		.amdhsa_float_round_mode_16_64 0
		.amdhsa_float_denorm_mode_32 3
		.amdhsa_float_denorm_mode_16_64 3
		.amdhsa_dx10_clamp 1
		.amdhsa_ieee_mode 1
		.amdhsa_fp16_overflow 0
		.amdhsa_tg_split 0
		.amdhsa_exception_fp_ieee_invalid_op 0
		.amdhsa_exception_fp_denorm_src 0
		.amdhsa_exception_fp_ieee_div_zero 0
		.amdhsa_exception_fp_ieee_overflow 0
		.amdhsa_exception_fp_ieee_underflow 0
		.amdhsa_exception_fp_ieee_inexact 0
		.amdhsa_exception_int_div_zero 0
	.end_amdhsa_kernel
	.text
.Lfunc_end0:
	.size	fft_rtc_back_len1904_factors_17_2_2_7_4_wgs_119_tpt_119_halfLds_dp_ip_CI_unitstride_sbrr_R2C_dirReg, .Lfunc_end0-fft_rtc_back_len1904_factors_17_2_2_7_4_wgs_119_tpt_119_halfLds_dp_ip_CI_unitstride_sbrr_R2C_dirReg
                                        ; -- End function
	.section	.AMDGPU.csdata,"",@progbits
; Kernel info:
; codeLenInByte = 17064
; NumSgprs: 60
; NumVgprs: 256
; NumAgprs: 0
; TotalNumVgprs: 256
; ScratchSize: 0
; MemoryBound: 0
; FloatMode: 240
; IeeeMode: 1
; LDSByteSize: 0 bytes/workgroup (compile time only)
; SGPRBlocks: 7
; VGPRBlocks: 31
; NumSGPRsForWavesPerEU: 60
; NumVGPRsForWavesPerEU: 256
; AccumOffset: 256
; Occupancy: 2
; WaveLimiterHint : 1
; COMPUTE_PGM_RSRC2:SCRATCH_EN: 0
; COMPUTE_PGM_RSRC2:USER_SGPR: 2
; COMPUTE_PGM_RSRC2:TRAP_HANDLER: 0
; COMPUTE_PGM_RSRC2:TGID_X_EN: 1
; COMPUTE_PGM_RSRC2:TGID_Y_EN: 0
; COMPUTE_PGM_RSRC2:TGID_Z_EN: 0
; COMPUTE_PGM_RSRC2:TIDIG_COMP_CNT: 0
; COMPUTE_PGM_RSRC3_GFX90A:ACCUM_OFFSET: 63
; COMPUTE_PGM_RSRC3_GFX90A:TG_SPLIT: 0
	.text
	.p2alignl 6, 3212836864
	.fill 256, 4, 3212836864
	.type	__hip_cuid_2e61d89490ef68e8,@object ; @__hip_cuid_2e61d89490ef68e8
	.section	.bss,"aw",@nobits
	.globl	__hip_cuid_2e61d89490ef68e8
__hip_cuid_2e61d89490ef68e8:
	.byte	0                               ; 0x0
	.size	__hip_cuid_2e61d89490ef68e8, 1

	.ident	"AMD clang version 19.0.0git (https://github.com/RadeonOpenCompute/llvm-project roc-6.4.0 25133 c7fe45cf4b819c5991fe208aaa96edf142730f1d)"
	.section	".note.GNU-stack","",@progbits
	.addrsig
	.addrsig_sym __hip_cuid_2e61d89490ef68e8
	.amdgpu_metadata
---
amdhsa.kernels:
  - .agpr_count:     0
    .args:
      - .actual_access:  read_only
        .address_space:  global
        .offset:         0
        .size:           8
        .value_kind:     global_buffer
      - .offset:         8
        .size:           8
        .value_kind:     by_value
      - .actual_access:  read_only
        .address_space:  global
        .offset:         16
        .size:           8
        .value_kind:     global_buffer
      - .actual_access:  read_only
        .address_space:  global
        .offset:         24
        .size:           8
        .value_kind:     global_buffer
      - .offset:         32
        .size:           8
        .value_kind:     by_value
      - .actual_access:  read_only
        .address_space:  global
        .offset:         40
        .size:           8
        .value_kind:     global_buffer
      - .actual_access:  read_only
        .address_space:  global
        .offset:         48
        .size:           8
        .value_kind:     global_buffer
      - .offset:         56
        .size:           4
        .value_kind:     by_value
      - .actual_access:  read_only
        .address_space:  global
        .offset:         64
        .size:           8
        .value_kind:     global_buffer
      - .actual_access:  read_only
        .address_space:  global
        .offset:         72
        .size:           8
        .value_kind:     global_buffer
      - .address_space:  global
        .offset:         80
        .size:           8
        .value_kind:     global_buffer
    .group_segment_fixed_size: 0
    .kernarg_segment_align: 8
    .kernarg_segment_size: 88
    .language:       OpenCL C
    .language_version:
      - 2
      - 0
    .max_flat_workgroup_size: 119
    .name:           fft_rtc_back_len1904_factors_17_2_2_7_4_wgs_119_tpt_119_halfLds_dp_ip_CI_unitstride_sbrr_R2C_dirReg
    .private_segment_fixed_size: 0
    .sgpr_count:     60
    .sgpr_spill_count: 0
    .symbol:         fft_rtc_back_len1904_factors_17_2_2_7_4_wgs_119_tpt_119_halfLds_dp_ip_CI_unitstride_sbrr_R2C_dirReg.kd
    .uniform_work_group_size: 1
    .uses_dynamic_stack: false
    .vgpr_count:     256
    .vgpr_spill_count: 0
    .wavefront_size: 64
amdhsa.target:   amdgcn-amd-amdhsa--gfx950
amdhsa.version:
  - 1
  - 2
...

	.end_amdgpu_metadata
